;; amdgpu-corpus repo=ROCm/rocFFT kind=compiled arch=gfx1030 opt=O3
	.text
	.amdgcn_target "amdgcn-amd-amdhsa--gfx1030"
	.amdhsa_code_object_version 6
	.protected	fft_rtc_back_len1512_factors_2_2_2_3_3_3_7_wgs_63_tpt_63_halfLds_sp_op_CI_CI_unitstride_sbrr_C2R_dirReg ; -- Begin function fft_rtc_back_len1512_factors_2_2_2_3_3_3_7_wgs_63_tpt_63_halfLds_sp_op_CI_CI_unitstride_sbrr_C2R_dirReg
	.globl	fft_rtc_back_len1512_factors_2_2_2_3_3_3_7_wgs_63_tpt_63_halfLds_sp_op_CI_CI_unitstride_sbrr_C2R_dirReg
	.p2align	8
	.type	fft_rtc_back_len1512_factors_2_2_2_3_3_3_7_wgs_63_tpt_63_halfLds_sp_op_CI_CI_unitstride_sbrr_C2R_dirReg,@function
fft_rtc_back_len1512_factors_2_2_2_3_3_3_7_wgs_63_tpt_63_halfLds_sp_op_CI_CI_unitstride_sbrr_C2R_dirReg: ; @fft_rtc_back_len1512_factors_2_2_2_3_3_3_7_wgs_63_tpt_63_halfLds_sp_op_CI_CI_unitstride_sbrr_C2R_dirReg
; %bb.0:
	s_clause 0x2
	s_load_dwordx4 s[12:15], s[4:5], 0x0
	s_load_dwordx4 s[8:11], s[4:5], 0x58
	;; [unrolled: 1-line block ×3, first 2 shown]
	v_mul_u32_u24_e32 v1, 0x411, v0
	v_mov_b32_e32 v3, 0
	v_add_nc_u32_sdwa v5, s6, v1 dst_sel:DWORD dst_unused:UNUSED_PAD src0_sel:DWORD src1_sel:WORD_1
	v_mov_b32_e32 v1, 0
	v_mov_b32_e32 v6, v3
	v_mov_b32_e32 v2, 0
	s_waitcnt lgkmcnt(0)
	v_cmp_lt_u64_e64 s0, s[14:15], 2
	s_and_b32 vcc_lo, exec_lo, s0
	s_cbranch_vccnz .LBB0_8
; %bb.1:
	s_load_dwordx2 s[0:1], s[4:5], 0x10
	v_mov_b32_e32 v1, 0
	v_mov_b32_e32 v2, 0
	s_add_u32 s2, s18, 8
	s_addc_u32 s3, s19, 0
	s_add_u32 s6, s16, 8
	s_addc_u32 s7, s17, 0
	v_mov_b32_e32 v57, v2
	v_mov_b32_e32 v56, v1
	s_mov_b64 s[22:23], 1
	s_waitcnt lgkmcnt(0)
	s_add_u32 s20, s0, 8
	s_addc_u32 s21, s1, 0
.LBB0_2:                                ; =>This Inner Loop Header: Depth=1
	s_load_dwordx2 s[24:25], s[20:21], 0x0
                                        ; implicit-def: $vgpr60_vgpr61
	s_mov_b32 s0, exec_lo
	s_waitcnt lgkmcnt(0)
	v_or_b32_e32 v4, s25, v6
	v_cmpx_ne_u64_e32 0, v[3:4]
	s_xor_b32 s1, exec_lo, s0
	s_cbranch_execz .LBB0_4
; %bb.3:                                ;   in Loop: Header=BB0_2 Depth=1
	v_cvt_f32_u32_e32 v4, s24
	v_cvt_f32_u32_e32 v7, s25
	s_sub_u32 s0, 0, s24
	s_subb_u32 s26, 0, s25
	v_fmac_f32_e32 v4, 0x4f800000, v7
	v_rcp_f32_e32 v4, v4
	v_mul_f32_e32 v4, 0x5f7ffffc, v4
	v_mul_f32_e32 v7, 0x2f800000, v4
	v_trunc_f32_e32 v7, v7
	v_fmac_f32_e32 v4, 0xcf800000, v7
	v_cvt_u32_f32_e32 v7, v7
	v_cvt_u32_f32_e32 v4, v4
	v_mul_lo_u32 v8, s0, v7
	v_mul_hi_u32 v9, s0, v4
	v_mul_lo_u32 v10, s26, v4
	v_add_nc_u32_e32 v8, v9, v8
	v_mul_lo_u32 v9, s0, v4
	v_add_nc_u32_e32 v8, v8, v10
	v_mul_hi_u32 v10, v4, v9
	v_mul_lo_u32 v11, v4, v8
	v_mul_hi_u32 v12, v4, v8
	v_mul_hi_u32 v13, v7, v9
	v_mul_lo_u32 v9, v7, v9
	v_mul_hi_u32 v14, v7, v8
	v_mul_lo_u32 v8, v7, v8
	v_add_co_u32 v10, vcc_lo, v10, v11
	v_add_co_ci_u32_e32 v11, vcc_lo, 0, v12, vcc_lo
	v_add_co_u32 v9, vcc_lo, v10, v9
	v_add_co_ci_u32_e32 v9, vcc_lo, v11, v13, vcc_lo
	v_add_co_ci_u32_e32 v10, vcc_lo, 0, v14, vcc_lo
	v_add_co_u32 v8, vcc_lo, v9, v8
	v_add_co_ci_u32_e32 v9, vcc_lo, 0, v10, vcc_lo
	v_add_co_u32 v4, vcc_lo, v4, v8
	v_add_co_ci_u32_e32 v7, vcc_lo, v7, v9, vcc_lo
	v_mul_hi_u32 v8, s0, v4
	v_mul_lo_u32 v10, s26, v4
	v_mul_lo_u32 v9, s0, v7
	v_add_nc_u32_e32 v8, v8, v9
	v_mul_lo_u32 v9, s0, v4
	v_add_nc_u32_e32 v8, v8, v10
	v_mul_hi_u32 v10, v4, v9
	v_mul_lo_u32 v11, v4, v8
	v_mul_hi_u32 v12, v4, v8
	v_mul_hi_u32 v13, v7, v9
	v_mul_lo_u32 v9, v7, v9
	v_mul_hi_u32 v14, v7, v8
	v_mul_lo_u32 v8, v7, v8
	v_add_co_u32 v10, vcc_lo, v10, v11
	v_add_co_ci_u32_e32 v11, vcc_lo, 0, v12, vcc_lo
	v_add_co_u32 v9, vcc_lo, v10, v9
	v_add_co_ci_u32_e32 v9, vcc_lo, v11, v13, vcc_lo
	v_add_co_ci_u32_e32 v10, vcc_lo, 0, v14, vcc_lo
	v_add_co_u32 v8, vcc_lo, v9, v8
	v_add_co_ci_u32_e32 v9, vcc_lo, 0, v10, vcc_lo
	v_add_co_u32 v4, vcc_lo, v4, v8
	v_add_co_ci_u32_e32 v11, vcc_lo, v7, v9, vcc_lo
	v_mul_hi_u32 v13, v5, v4
	v_mad_u64_u32 v[9:10], null, v6, v4, 0
	v_mad_u64_u32 v[7:8], null, v5, v11, 0
	;; [unrolled: 1-line block ×3, first 2 shown]
	v_add_co_u32 v4, vcc_lo, v13, v7
	v_add_co_ci_u32_e32 v7, vcc_lo, 0, v8, vcc_lo
	v_add_co_u32 v4, vcc_lo, v4, v9
	v_add_co_ci_u32_e32 v4, vcc_lo, v7, v10, vcc_lo
	v_add_co_ci_u32_e32 v7, vcc_lo, 0, v12, vcc_lo
	v_add_co_u32 v4, vcc_lo, v4, v11
	v_add_co_ci_u32_e32 v9, vcc_lo, 0, v7, vcc_lo
	v_mul_lo_u32 v10, s25, v4
	v_mad_u64_u32 v[7:8], null, s24, v4, 0
	v_mul_lo_u32 v11, s24, v9
	v_sub_co_u32 v7, vcc_lo, v5, v7
	v_add3_u32 v8, v8, v11, v10
	v_sub_nc_u32_e32 v10, v6, v8
	v_subrev_co_ci_u32_e64 v10, s0, s25, v10, vcc_lo
	v_add_co_u32 v11, s0, v4, 2
	v_add_co_ci_u32_e64 v12, s0, 0, v9, s0
	v_sub_co_u32 v13, s0, v7, s24
	v_sub_co_ci_u32_e32 v8, vcc_lo, v6, v8, vcc_lo
	v_subrev_co_ci_u32_e64 v10, s0, 0, v10, s0
	v_cmp_le_u32_e32 vcc_lo, s24, v13
	v_cmp_eq_u32_e64 s0, s25, v8
	v_cndmask_b32_e64 v13, 0, -1, vcc_lo
	v_cmp_le_u32_e32 vcc_lo, s25, v10
	v_cndmask_b32_e64 v14, 0, -1, vcc_lo
	v_cmp_le_u32_e32 vcc_lo, s24, v7
	;; [unrolled: 2-line block ×3, first 2 shown]
	v_cndmask_b32_e64 v15, 0, -1, vcc_lo
	v_cmp_eq_u32_e32 vcc_lo, s25, v10
	v_cndmask_b32_e64 v7, v15, v7, s0
	v_cndmask_b32_e32 v10, v14, v13, vcc_lo
	v_add_co_u32 v13, vcc_lo, v4, 1
	v_add_co_ci_u32_e32 v14, vcc_lo, 0, v9, vcc_lo
	v_cmp_ne_u32_e32 vcc_lo, 0, v10
	v_cndmask_b32_e32 v8, v14, v12, vcc_lo
	v_cndmask_b32_e32 v10, v13, v11, vcc_lo
	v_cmp_ne_u32_e32 vcc_lo, 0, v7
	v_cndmask_b32_e32 v61, v9, v8, vcc_lo
	v_cndmask_b32_e32 v60, v4, v10, vcc_lo
.LBB0_4:                                ;   in Loop: Header=BB0_2 Depth=1
	s_andn2_saveexec_b32 s0, s1
	s_cbranch_execz .LBB0_6
; %bb.5:                                ;   in Loop: Header=BB0_2 Depth=1
	v_cvt_f32_u32_e32 v4, s24
	s_sub_i32 s1, 0, s24
	v_mov_b32_e32 v61, v3
	v_rcp_iflag_f32_e32 v4, v4
	v_mul_f32_e32 v4, 0x4f7ffffe, v4
	v_cvt_u32_f32_e32 v4, v4
	v_mul_lo_u32 v7, s1, v4
	v_mul_hi_u32 v7, v4, v7
	v_add_nc_u32_e32 v4, v4, v7
	v_mul_hi_u32 v4, v5, v4
	v_mul_lo_u32 v7, v4, s24
	v_add_nc_u32_e32 v8, 1, v4
	v_sub_nc_u32_e32 v7, v5, v7
	v_subrev_nc_u32_e32 v9, s24, v7
	v_cmp_le_u32_e32 vcc_lo, s24, v7
	v_cndmask_b32_e32 v7, v7, v9, vcc_lo
	v_cndmask_b32_e32 v4, v4, v8, vcc_lo
	v_cmp_le_u32_e32 vcc_lo, s24, v7
	v_add_nc_u32_e32 v8, 1, v4
	v_cndmask_b32_e32 v60, v4, v8, vcc_lo
.LBB0_6:                                ;   in Loop: Header=BB0_2 Depth=1
	s_or_b32 exec_lo, exec_lo, s0
	v_mul_lo_u32 v4, v61, s24
	v_mul_lo_u32 v9, v60, s25
	s_load_dwordx2 s[0:1], s[6:7], 0x0
	v_mad_u64_u32 v[7:8], null, v60, s24, 0
	s_load_dwordx2 s[24:25], s[2:3], 0x0
	s_add_u32 s22, s22, 1
	s_addc_u32 s23, s23, 0
	s_add_u32 s2, s2, 8
	s_addc_u32 s3, s3, 0
	s_add_u32 s6, s6, 8
	v_add3_u32 v4, v8, v9, v4
	v_sub_co_u32 v5, vcc_lo, v5, v7
	s_addc_u32 s7, s7, 0
	s_add_u32 s20, s20, 8
	v_sub_co_ci_u32_e32 v4, vcc_lo, v6, v4, vcc_lo
	s_addc_u32 s21, s21, 0
	s_waitcnt lgkmcnt(0)
	v_mul_lo_u32 v6, s0, v4
	v_mul_lo_u32 v7, s1, v5
	v_mad_u64_u32 v[1:2], null, s0, v5, v[1:2]
	v_mul_lo_u32 v4, s24, v4
	v_mul_lo_u32 v8, s25, v5
	v_mad_u64_u32 v[56:57], null, s24, v5, v[56:57]
	v_cmp_ge_u64_e64 s0, s[22:23], s[14:15]
	v_add3_u32 v2, v7, v2, v6
	v_add3_u32 v57, v8, v57, v4
	s_and_b32 vcc_lo, exec_lo, s0
	s_cbranch_vccnz .LBB0_9
; %bb.7:                                ;   in Loop: Header=BB0_2 Depth=1
	v_mov_b32_e32 v5, v60
	v_mov_b32_e32 v6, v61
	s_branch .LBB0_2
.LBB0_8:
	v_mov_b32_e32 v57, v2
	v_mov_b32_e32 v61, v6
	;; [unrolled: 1-line block ×4, first 2 shown]
.LBB0_9:
	s_load_dwordx2 s[0:1], s[4:5], 0x28
	v_mul_hi_u32 v3, 0x4104105, v0
	s_lshl_b64 s[4:5], s[14:15], 3
                                        ; implicit-def: $vgpr58
	s_add_u32 s2, s18, s4
	s_addc_u32 s3, s19, s5
	s_waitcnt lgkmcnt(0)
	v_cmp_gt_u64_e32 vcc_lo, s[0:1], v[60:61]
	v_cmp_le_u64_e64 s0, s[0:1], v[60:61]
	s_and_saveexec_b32 s1, s0
	s_xor_b32 s0, exec_lo, s1
; %bb.10:
	v_mul_u32_u24_e32 v1, 63, v3
                                        ; implicit-def: $vgpr3
	v_sub_nc_u32_e32 v58, v0, v1
                                        ; implicit-def: $vgpr0
                                        ; implicit-def: $vgpr1_vgpr2
; %bb.11:
	s_or_saveexec_b32 s1, s0
	s_load_dwordx2 s[2:3], s[2:3], 0x0
	s_xor_b32 exec_lo, exec_lo, s1
	s_cbranch_execz .LBB0_15
; %bb.12:
	s_add_u32 s4, s16, s4
	s_addc_u32 s5, s17, s5
	v_lshlrev_b64 v[1:2], 3, v[1:2]
	s_load_dwordx2 s[4:5], s[4:5], 0x0
	s_waitcnt lgkmcnt(0)
	v_mul_lo_u32 v6, s5, v60
	v_mul_lo_u32 v7, s4, v61
	v_mad_u64_u32 v[4:5], null, s4, v60, 0
	v_add3_u32 v5, v5, v7, v6
	v_mul_u32_u24_e32 v6, 63, v3
	v_lshlrev_b64 v[3:4], 3, v[4:5]
	v_sub_nc_u32_e32 v58, v0, v6
	v_lshlrev_b32_e32 v50, 3, v58
	v_add_co_u32 v0, s0, s8, v3
	v_add_co_ci_u32_e64 v3, s0, s9, v4, s0
	v_add_co_u32 v0, s0, v0, v1
	v_add_co_ci_u32_e64 v1, s0, v3, v2, s0
	;; [unrolled: 2-line block ×3, first 2 shown]
	s_clause 0x3
	global_load_dwordx2 v[4:5], v[2:3], off
	global_load_dwordx2 v[6:7], v[2:3], off offset:504
	global_load_dwordx2 v[8:9], v[2:3], off offset:1008
	;; [unrolled: 1-line block ×3, first 2 shown]
	v_add_co_u32 v12, s0, 0x800, v2
	v_add_co_ci_u32_e64 v13, s0, 0, v3, s0
	v_add_co_u32 v14, s0, 0x1000, v2
	v_add_co_ci_u32_e64 v15, s0, 0, v3, s0
	;; [unrolled: 2-line block ×5, first 2 shown]
	s_clause 0x13
	global_load_dwordx2 v[2:3], v[2:3], off offset:2016
	global_load_dwordx2 v[22:23], v[12:13], off offset:472
	;; [unrolled: 1-line block ×20, first 2 shown]
	v_add_nc_u32_e32 v50, 0, v50
	v_cmp_eq_u32_e64 s0, 62, v58
	v_add_nc_u32_e32 v51, 0x400, v50
	v_add_nc_u32_e32 v52, 0x800, v50
	;; [unrolled: 1-line block ×10, first 2 shown]
	s_waitcnt vmcnt(22)
	ds_write2_b64 v50, v[4:5], v[6:7] offset1:63
	s_waitcnt vmcnt(20)
	ds_write2_b64 v50, v[8:9], v[10:11] offset0:126 offset1:189
	s_waitcnt vmcnt(18)
	ds_write2_b64 v51, v[2:3], v[22:23] offset0:124 offset1:187
	s_waitcnt vmcnt(16)
	ds_write2_b64 v52, v[24:25], v[26:27] offset0:122 offset1:185
	s_waitcnt vmcnt(14)
	ds_write2_b64 v53, v[12:13], v[28:29] offset0:120 offset1:183
	s_waitcnt vmcnt(12)
	ds_write2_b64 v54, v[30:31], v[32:33] offset0:118 offset1:181
	s_waitcnt vmcnt(10)
	ds_write2_b64 v55, v[14:15], v[34:35] offset0:116 offset1:179
	s_waitcnt vmcnt(8)
	ds_write2_b64 v59, v[36:37], v[38:39] offset0:114 offset1:177
	s_waitcnt vmcnt(6)
	ds_write2_b64 v62, v[16:17], v[40:41] offset0:112 offset1:175
	s_waitcnt vmcnt(4)
	ds_write2_b64 v63, v[42:43], v[44:45] offset0:110 offset1:173
	s_waitcnt vmcnt(2)
	ds_write2_b64 v64, v[18:19], v[46:47] offset0:108 offset1:171
	s_waitcnt vmcnt(0)
	ds_write2_b64 v65, v[48:49], v[20:21] offset0:106 offset1:169
	s_and_saveexec_b32 s4, s0
	s_cbranch_execz .LBB0_14
; %bb.13:
	v_add_co_u32 v0, s0, 0x2800, v0
	v_add_co_ci_u32_e64 v1, s0, 0, v1, s0
	v_mov_b32_e32 v2, 0
	v_mov_b32_e32 v58, 62
	global_load_dwordx2 v[0:1], v[0:1], off offset:1856
	s_waitcnt vmcnt(0)
	ds_write_b64 v2, v[0:1] offset:12096
.LBB0_14:
	s_or_b32 exec_lo, exec_lo, s4
.LBB0_15:
	s_or_b32 exec_lo, exec_lo, s1
	v_lshlrev_b32_e32 v0, 3, v58
	s_waitcnt lgkmcnt(0)
	s_barrier
	buffer_gl0_inv
	s_add_u32 s1, s12, 0x2f30
	v_add_nc_u32_e32 v66, 0, v0
	v_sub_nc_u32_e32 v4, 0, v0
	s_addc_u32 s4, s13, 0
	s_mov_b32 s5, exec_lo
                                        ; implicit-def: $vgpr2_vgpr3
	ds_read_b32 v5, v66
	ds_read_b32 v6, v4 offset:12096
	s_waitcnt lgkmcnt(0)
	v_add_f32_e32 v0, v6, v5
	v_sub_f32_e32 v1, v5, v6
	v_cmpx_ne_u32_e32 0, v58
	s_xor_b32 s5, exec_lo, s5
	s_cbranch_execz .LBB0_17
; %bb.16:
	v_mov_b32_e32 v59, 0
	v_add_f32_e32 v7, v6, v5
	v_sub_f32_e32 v8, v5, v6
	v_lshlrev_b64 v[0:1], 3, v[58:59]
	v_add_co_u32 v0, s0, s1, v0
	v_add_co_ci_u32_e64 v1, s0, s4, v1, s0
	global_load_dwordx2 v[2:3], v[0:1], off
	ds_read_b32 v0, v4 offset:12100
	ds_read_b32 v1, v66 offset:4
	s_waitcnt lgkmcnt(0)
	v_add_f32_e32 v9, v0, v1
	v_sub_f32_e32 v0, v1, v0
	s_waitcnt vmcnt(0)
	v_fma_f32 v5, -v8, v3, v7
	v_fma_f32 v6, v9, v3, -v0
	v_fma_f32 v10, v8, v3, v7
	v_fma_f32 v1, v9, v3, v0
	v_fmac_f32_e32 v5, v2, v9
	v_fmac_f32_e32 v6, v8, v2
	v_fma_f32 v0, -v2, v9, v10
	v_fmac_f32_e32 v1, v8, v2
	v_mov_b32_e32 v2, v58
	v_mov_b32_e32 v3, v59
	ds_write_b64 v4, v[5:6] offset:12096
.LBB0_17:
	s_andn2_saveexec_b32 s0, s5
	s_cbranch_execz .LBB0_19
; %bb.18:
	v_mov_b32_e32 v7, 0
	ds_read_b64 v[2:3], v7 offset:6048
	s_waitcnt lgkmcnt(0)
	v_add_f32_e32 v5, v2, v2
	v_mul_f32_e32 v6, -2.0, v3
	v_mov_b32_e32 v2, 0
	v_mov_b32_e32 v3, 0
	ds_write_b64 v7, v[5:6] offset:6048
.LBB0_19:
	s_or_b32 exec_lo, exec_lo, s0
	v_lshlrev_b64 v[2:3], 3, v[2:3]
	v_add_nc_u32_e32 v59, 0x1400, v66
	v_add_nc_u32_e32 v67, 0x1800, v66
	;; [unrolled: 1-line block ×5, first 2 shown]
	v_add_co_u32 v2, s0, s1, v2
	v_add_co_ci_u32_e64 v3, s0, s4, v3, s0
	v_add_nc_u32_e32 v69, 0x2000, v66
	v_add_co_u32 v13, s0, 0x800, v2
	s_clause 0x3
	global_load_dwordx2 v[5:6], v[2:3], off offset:504
	global_load_dwordx2 v[7:8], v[2:3], off offset:1008
	;; [unrolled: 1-line block ×4, first 2 shown]
	v_add_co_ci_u32_e64 v14, s0, 0, v3, s0
	v_add_co_u32 v2, s0, 0x1000, v2
	s_clause 0x2
	global_load_dwordx2 v[15:16], v[13:14], off offset:472
	global_load_dwordx2 v[17:18], v[13:14], off offset:976
	global_load_dwordx2 v[19:20], v[13:14], off offset:1480
	ds_write_b64 v66, v[0:1]
	ds_read_b64 v[0:1], v66 offset:504
	ds_read_b64 v[21:22], v4 offset:11592
	global_load_dwordx2 v[13:14], v[13:14], off offset:1984
	v_add_co_ci_u32_e64 v3, s0, 0, v3, s0
	v_add_nc_u32_e32 v34, 0xc00, v66
	v_add_nc_u32_e32 v33, 0x2400, v66
	;; [unrolled: 1-line block ×11, first 2 shown]
	v_and_b32_e32 v96, 1, v37
	v_lshl_add_u32 v55, v39, 4, 0
	v_lshl_add_u32 v86, v73, 4, 0
	;; [unrolled: 1-line block ×4, first 2 shown]
	s_waitcnt lgkmcnt(0)
	v_add_f32_e32 v23, v0, v21
	v_add_f32_e32 v24, v22, v1
	v_sub_f32_e32 v25, v0, v21
	v_sub_f32_e32 v0, v1, v22
	v_lshl_add_u32 v89, v35, 4, 0
	v_lshl_add_u32 v90, v38, 4, 0
	v_cmp_gt_u32_e64 s0, 9, v58
	s_waitcnt vmcnt(7)
	v_fma_f32 v26, v25, v6, v23
	v_fma_f32 v1, v24, v6, v0
	v_fma_f32 v21, -v25, v6, v23
	v_fma_f32 v22, v24, v6, -v0
	v_fma_f32 v0, -v5, v24, v26
	v_fmac_f32_e32 v1, v25, v5
	v_fmac_f32_e32 v21, v5, v24
	v_fmac_f32_e32 v22, v25, v5
	ds_write_b64 v66, v[0:1] offset:504
	ds_write_b64 v4, v[21:22] offset:11592
	ds_read_b64 v[0:1], v66 offset:1008
	ds_read_b64 v[5:6], v4 offset:11088
	global_load_dwordx2 v[21:22], v[2:3], off offset:440
	s_waitcnt lgkmcnt(0)
	v_add_f32_e32 v23, v0, v5
	v_add_f32_e32 v24, v6, v1
	v_sub_f32_e32 v25, v0, v5
	v_sub_f32_e32 v0, v1, v6
	s_waitcnt vmcnt(7)
	v_fma_f32 v26, v25, v8, v23
	v_fma_f32 v1, v24, v8, v0
	v_fma_f32 v5, -v25, v8, v23
	v_fma_f32 v6, v24, v8, -v0
	v_fma_f32 v0, -v7, v24, v26
	v_fmac_f32_e32 v1, v25, v7
	v_fmac_f32_e32 v5, v7, v24
	v_fmac_f32_e32 v6, v25, v7
	ds_write_b64 v66, v[0:1] offset:1008
	ds_write_b64 v4, v[5:6] offset:11088
	ds_read_b64 v[0:1], v66 offset:1512
	ds_read_b64 v[5:6], v4 offset:10584
	global_load_dwordx2 v[7:8], v[2:3], off offset:944
	s_waitcnt lgkmcnt(0)
	v_add_f32_e32 v23, v0, v5
	v_add_f32_e32 v24, v6, v1
	v_sub_f32_e32 v25, v0, v5
	v_sub_f32_e32 v0, v1, v6
	;; [unrolled: 19-line block ×3, first 2 shown]
	s_waitcnt vmcnt(7)
	v_fma_f32 v6, v5, v12, v2
	v_fma_f32 v1, v9, v12, v0
	v_fma_f32 v2, -v5, v12, v2
	v_fma_f32 v3, v9, v12, -v0
	v_fma_f32 v0, -v11, v9, v6
	v_fmac_f32_e32 v1, v5, v11
	v_fmac_f32_e32 v2, v11, v9
	v_fmac_f32_e32 v3, v5, v11
	ds_write_b64 v66, v[0:1] offset:2016
	ds_write_b64 v4, v[2:3] offset:10080
	ds_read_b64 v[0:1], v66 offset:2520
	ds_read_b64 v[2:3], v4 offset:9576
	s_waitcnt lgkmcnt(0)
	v_add_f32_e32 v5, v0, v2
	v_add_f32_e32 v6, v3, v1
	v_sub_f32_e32 v9, v0, v2
	v_sub_f32_e32 v0, v1, v3
	s_waitcnt vmcnt(6)
	v_fma_f32 v10, v9, v16, v5
	v_fma_f32 v1, v6, v16, v0
	v_fma_f32 v2, -v9, v16, v5
	v_fma_f32 v3, v6, v16, -v0
	v_fma_f32 v0, -v15, v6, v10
	v_fmac_f32_e32 v1, v9, v15
	v_fmac_f32_e32 v2, v15, v6
	v_fmac_f32_e32 v3, v9, v15
	ds_write_b64 v66, v[0:1] offset:2520
	ds_write_b64 v4, v[2:3] offset:9576
	ds_read_b64 v[0:1], v66 offset:3024
	ds_read_b64 v[2:3], v4 offset:9072
	s_waitcnt lgkmcnt(0)
	v_add_f32_e32 v5, v0, v2
	v_add_f32_e32 v6, v3, v1
	v_sub_f32_e32 v9, v0, v2
	v_sub_f32_e32 v0, v1, v3
	;; [unrolled: 18-line block ×4, first 2 shown]
	s_waitcnt vmcnt(3)
	v_fma_f32 v10, v9, v14, v5
	v_fma_f32 v1, v6, v14, v0
	v_fma_f32 v2, -v9, v14, v5
	v_fma_f32 v3, v6, v14, -v0
	v_and_b32_e32 v14, 1, v58
	v_fma_f32 v0, -v13, v6, v10
	v_fmac_f32_e32 v1, v9, v13
	v_fmac_f32_e32 v2, v13, v6
	;; [unrolled: 1-line block ×3, first 2 shown]
	ds_write_b64 v66, v[0:1] offset:4032
	ds_write_b64 v4, v[2:3] offset:8064
	ds_read_b64 v[0:1], v66 offset:4536
	ds_read_b64 v[2:3], v4 offset:7560
	v_lshlrev_b32_e32 v95, 3, v14
	v_lshl_add_u32 v13, v40, 4, 0
	s_waitcnt lgkmcnt(0)
	v_add_f32_e32 v5, v0, v2
	v_add_f32_e32 v6, v3, v1
	v_sub_f32_e32 v9, v0, v2
	v_sub_f32_e32 v0, v1, v3
	s_waitcnt vmcnt(2)
	v_fma_f32 v10, v9, v22, v5
	v_fma_f32 v1, v6, v22, v0
	v_fma_f32 v2, -v9, v22, v5
	v_fma_f32 v3, v6, v22, -v0
	v_fma_f32 v0, -v21, v6, v10
	v_fmac_f32_e32 v1, v9, v21
	v_fmac_f32_e32 v2, v21, v6
	v_fmac_f32_e32 v3, v9, v21
	ds_write_b64 v66, v[0:1] offset:4536
	ds_write_b64 v4, v[2:3] offset:7560
	ds_read_b64 v[0:1], v66 offset:5040
	ds_read_b64 v[2:3], v4 offset:7056
	s_waitcnt lgkmcnt(0)
	v_add_f32_e32 v5, v0, v2
	v_add_f32_e32 v6, v3, v1
	v_sub_f32_e32 v9, v0, v2
	v_sub_f32_e32 v0, v1, v3
	s_waitcnt vmcnt(1)
	v_fma_f32 v10, v9, v8, v5
	v_fma_f32 v1, v6, v8, v0
	v_fma_f32 v2, -v9, v8, v5
	v_fma_f32 v3, v6, v8, -v0
	v_fma_f32 v0, -v7, v6, v10
	v_fmac_f32_e32 v1, v9, v7
	v_fmac_f32_e32 v2, v7, v6
	;; [unrolled: 1-line block ×3, first 2 shown]
	ds_write_b64 v66, v[0:1] offset:5040
	ds_write_b64 v4, v[2:3] offset:7056
	ds_read_b64 v[5:6], v66 offset:5544
	ds_read_b64 v[7:8], v4 offset:6552
	v_lshl_add_u32 v9, v58, 4, 0
	v_add_nc_u32_e32 v10, 0x1f8, v58
	v_add_nc_u32_e32 v2, 0x237, v58
	;; [unrolled: 1-line block ×4, first 2 shown]
	v_lshl_add_u32 v91, v10, 4, 0
	v_lshl_add_u32 v92, v2, 4, 0
	;; [unrolled: 1-line block ×4, first 2 shown]
	v_lshlrev_b32_e32 v10, 1, v10
	s_waitcnt lgkmcnt(0)
	v_add_f32_e32 v3, v5, v7
	v_add_f32_e32 v11, v8, v6
	v_sub_f32_e32 v12, v5, v7
	v_sub_f32_e32 v5, v6, v8
	s_waitcnt vmcnt(0)
	v_fma_f32 v15, v12, v24, v3
	v_fma_f32 v6, v11, v24, v5
	v_fma_f32 v7, -v12, v24, v3
	v_fma_f32 v8, v11, v24, -v5
	v_fma_f32 v5, -v23, v11, v15
	v_fmac_f32_e32 v6, v12, v23
	v_fmac_f32_e32 v7, v23, v11
	;; [unrolled: 1-line block ×3, first 2 shown]
	ds_write_b64 v66, v[5:6] offset:5544
	ds_write_b64 v4, v[7:8] offset:6552
	s_waitcnt lgkmcnt(0)
	s_barrier
	buffer_gl0_inv
	s_barrier
	buffer_gl0_inv
	ds_read2_b64 v[3:6], v66 offset1:63
	ds_read2_b64 v[16:19], v59 offset0:116 offset1:179
	ds_read2_b64 v[20:23], v66 offset0:126 offset1:189
	ds_read2_b64 v[24:27], v67 offset0:114 offset1:177
	ds_read2_b64 v[28:31], v32 offset0:124 offset1:187
	ds_read2_b64 v[41:44], v68 offset0:112 offset1:175
	ds_read2_b64 v[45:48], v70 offset0:122 offset1:185
	ds_read2_b64 v[49:52], v69 offset0:110 offset1:173
	ds_read2_b64 v[62:65], v34 offset0:120 offset1:183
	ds_read2_b64 v[74:77], v33 offset0:108 offset1:171
	ds_read2_b64 v[78:81], v71 offset0:118 offset1:181
	ds_read2_b64 v[82:85], v72 offset0:106 offset1:169
	v_and_b32_e32 v15, 1, v73
	s_waitcnt lgkmcnt(0)
	s_barrier
	buffer_gl0_inv
	v_lshlrev_b32_e32 v97, 3, v15
	v_sub_f32_e32 v7, v3, v16
	v_sub_f32_e32 v8, v4, v17
	;; [unrolled: 1-line block ×24, first 2 shown]
	v_fma_f32 v3, v3, 2.0, -v7
	v_fma_f32 v4, v4, 2.0, -v8
	;; [unrolled: 1-line block ×24, first 2 shown]
	ds_write2_b64 v9, v[3:4], v[7:8] offset1:1
	ds_write2_b64 v13, v[5:6], v[11:12] offset1:1
	;; [unrolled: 1-line block ×12, first 2 shown]
	s_waitcnt lgkmcnt(0)
	s_barrier
	buffer_gl0_inv
	global_load_dwordx2 v[29:30], v97, s[12:13]
	v_lshlrev_b32_e32 v3, 3, v96
	global_load_dwordx2 v[53:54], v95, s[12:13]
	v_and_b32_e32 v17, 1, v38
	v_and_b32_e32 v18, 1, v2
	;; [unrolled: 1-line block ×3, first 2 shown]
	global_load_dwordx2 v[63:64], v3, s[12:13]
	v_and_b32_e32 v20, 1, v40
	v_lshlrev_b32_e32 v3, 3, v17
	v_lshlrev_b32_e32 v62, 1, v58
	;; [unrolled: 1-line block ×5, first 2 shown]
	global_load_dwordx2 v[90:91], v3, s[12:13]
	v_lshlrev_b32_e32 v3, 3, v18
	v_and_or_b32 v21, 0x7c, v62, v14
	v_lshlrev_b32_e32 v9, 1, v38
	v_lshlrev_b32_e32 v11, 1, v2
	;; [unrolled: 1-line block ×3, first 2 shown]
	global_load_dwordx2 v[92:93], v3, s[12:13]
	v_lshlrev_b32_e32 v3, 3, v19
	s_clause 0x2
	global_load_dwordx2 v[94:95], v3, s[12:13]
	global_load_dword v31, v4, s[12:13]
	global_load_dword v55, v3, s[12:13] offset:4
	v_lshlrev_b32_e32 v3, 1, v40
	v_lshlrev_b32_e32 v4, 1, v39
	v_lshl_add_u32 v97, v21, 3, 0
	v_and_or_b32 v23, 0x3fc, v6, v14
	v_and_or_b32 v24, 0x2fc, v7, v96
	;; [unrolled: 1-line block ×7, first 2 shown]
	ds_read2_b64 v[17:20], v67 offset0:114 offset1:177
	v_lshlrev_b32_e32 v8, 1, v35
	v_lshl_add_u32 v98, v21, 3, 0
	v_lshl_add_u32 v99, v22, 3, 0
	;; [unrolled: 1-line block ×4, first 2 shown]
	ds_read2_b64 v[21:24], v68 offset0:112 offset1:175
	v_lshlrev_b32_e32 v5, 1, v73
	v_lshlrev_b32_e32 v12, 1, v0
	v_and_or_b32 v25, 0x3fc, v8, v14
	v_and_or_b32 v27, 0x7fc, v10, v14
	v_lshl_add_u32 v104, v26, 3, 0
	v_and_or_b32 v15, 0x1fc, v5, v15
	v_and_or_b32 v14, 0x5fc, v12, v14
	v_lshl_add_u32 v103, v25, 3, 0
	v_lshl_add_u32 v105, v27, 3, 0
	;; [unrolled: 1-line block ×4, first 2 shown]
	ds_read2_b64 v[25:28], v69 offset0:110 offset1:173
	ds_read2_b64 v[41:44], v33 offset0:108 offset1:171
	;; [unrolled: 1-line block ×4, first 2 shown]
	ds_read2_b64 v[74:77], v66 offset1:63
	ds_read2_b64 v[78:81], v66 offset0:126 offset1:189
	v_lshl_add_u32 v100, v15, 3, 0
	v_lshl_add_u32 v107, v14, 3, 0
	ds_read2_b64 v[82:85], v32 offset0:124 offset1:187
	ds_read2_b64 v[86:89], v70 offset0:122 offset1:185
	v_and_b32_e32 v16, 3, v35
	v_and_b32_e32 v65, 3, v38
	v_and_b32_e32 v2, 3, v2
	v_and_b32_e32 v0, 3, v0
	v_and_b32_e32 v1, 3, v1
	v_lshlrev_b32_e32 v96, 3, v16
	v_and_or_b32 v8, 0x3f8, v8, v16
	v_and_or_b32 v11, 0x4f8, v11, v2
	;; [unrolled: 1-line block ×5, first 2 shown]
	s_waitcnt vmcnt(7) lgkmcnt(9)
	v_mul_f32_e32 v109, v20, v30
	v_mul_f32_e32 v14, v19, v30
	s_waitcnt vmcnt(6)
	v_mul_f32_e32 v15, v54, v17
	v_mul_f32_e32 v30, v54, v18
	v_fmac_f32_e32 v109, v19, v29
	v_fma_f32 v110, v20, v29, -v14
	s_waitcnt vmcnt(5) lgkmcnt(8)
	v_mul_f32_e32 v111, v24, v64
	v_fma_f32 v29, v53, v18, -v15
	v_mul_f32_e32 v14, v23, v64
	v_mul_f32_e32 v15, v21, v54
	;; [unrolled: 1-line block ×3, first 2 shown]
	v_fmac_f32_e32 v111, v23, v63
	s_waitcnt vmcnt(4) lgkmcnt(7)
	v_mul_f32_e32 v112, v28, v91
	v_fma_f32 v63, v24, v63, -v14
	v_mul_f32_e32 v14, v27, v91
	v_fma_f32 v113, v22, v53, -v15
	v_mul_f32_e32 v15, v25, v54
	v_fmac_f32_e32 v30, v53, v17
	v_mul_f32_e32 v91, v26, v54
	v_fmac_f32_e32 v64, v21, v53
	v_fmac_f32_e32 v112, v27, v90
	v_fma_f32 v90, v28, v90, -v14
	ds_read2_b64 v[17:20], v34 offset0:120 offset1:183
	s_waitcnt vmcnt(3) lgkmcnt(7)
	v_mul_f32_e32 v114, v44, v93
	v_fma_f32 v115, v26, v53, -v15
	v_mul_f32_e32 v14, v43, v93
	v_mul_f32_e32 v15, v41, v54
	ds_read2_b64 v[21:24], v71 offset0:118 offset1:181
	v_fmac_f32_e32 v91, v25, v53
	s_waitcnt lgkmcnt(6)
	v_mul_f32_e32 v25, v54, v50
	v_fmac_f32_e32 v114, v43, v92
	v_fma_f32 v92, v44, v92, -v14
	s_waitcnt vmcnt(2)
	v_mul_f32_e32 v26, v95, v52
	v_mul_f32_e32 v14, v95, v51
	v_fma_f32 v95, v42, v53, -v15
	v_mul_f32_e32 v15, v54, v49
	v_mul_f32_e32 v93, v42, v54
	s_waitcnt vmcnt(1)
	v_fmac_f32_e32 v26, v31, v51
	v_fma_f32 v27, v31, v52, -v14
	v_fmac_f32_e32 v25, v53, v49
	v_fma_f32 v15, v53, v50, -v15
	v_mul_f32_e32 v31, v46, v54
	v_mul_f32_e32 v14, v45, v54
	s_waitcnt vmcnt(0)
	v_mul_f32_e32 v116, v48, v55
	v_mul_f32_e32 v28, v47, v55
	v_fmac_f32_e32 v93, v41, v53
	v_fmac_f32_e32 v31, v45, v53
	v_fma_f32 v54, v46, v53, -v14
	v_fmac_f32_e32 v116, v47, v94
	v_fma_f32 v55, v48, v94, -v28
	s_waitcnt lgkmcnt(5)
	v_sub_f32_e32 v14, v74, v25
	v_sub_f32_e32 v15, v75, v15
	v_sub_f32_e32 v25, v76, v26
	v_sub_f32_e32 v26, v77, v27
	s_waitcnt lgkmcnt(4)
	v_sub_f32_e32 v27, v78, v30
	v_sub_f32_e32 v28, v79, v29
	v_sub_f32_e32 v29, v80, v109
	v_sub_f32_e32 v30, v81, v110
	;; [unrolled: 5-line block ×6, first 2 shown]
	v_fma_f32 v74, v74, 2.0, -v14
	v_fma_f32 v75, v75, 2.0, -v15
	;; [unrolled: 1-line block ×10, first 2 shown]
	s_barrier
	buffer_gl0_inv
	v_fma_f32 v84, v84, 2.0, -v43
	v_fma_f32 v85, v85, 2.0, -v44
	;; [unrolled: 1-line block ×14, first 2 shown]
	ds_write2_b64 v97, v[74:75], v[14:15] offset1:2
	ds_write2_b64 v98, v[76:77], v[25:26] offset1:2
	;; [unrolled: 1-line block ×12, first 2 shown]
	v_lshlrev_b32_e32 v14, 3, v65
	v_and_b32_e32 v15, 3, v37
	v_and_b32_e32 v17, 3, v58
	s_waitcnt lgkmcnt(0)
	s_barrier
	buffer_gl0_inv
	s_clause 0x1
	global_load_dwordx2 v[41:42], v96, s[12:13] offset:16
	global_load_dwordx2 v[54:55], v14, s[12:13] offset:16
	v_lshlrev_b32_e32 v14, 3, v15
	v_lshlrev_b32_e32 v18, 3, v17
	;; [unrolled: 1-line block ×3, first 2 shown]
	s_clause 0x2
	global_load_dwordx2 v[63:64], v14, s[12:13] offset:16
	global_load_dwordx2 v[82:83], v18, s[12:13] offset:16
	global_load_dword v43, v19, s[12:13] offset:20
	v_and_b32_e32 v14, 3, v73
	v_lshlrev_b32_e32 v18, 3, v0
	v_lshlrev_b32_e32 v20, 3, v1
	global_load_dwordx2 v[84:85], v19, s[12:13] offset:16
	v_and_b32_e32 v21, 3, v40
	v_and_or_b32 v5, 0x1f8, v5, v14
	global_load_dword v90, v18, s[12:13] offset:20
	v_lshlrev_b32_e32 v19, 3, v14
	s_clause 0x2
	global_load_dword v91, v20, s[12:13] offset:20
	global_load_dword v92, v19, s[12:13] offset:16
	global_load_dwordx2 v[86:87], v18, s[12:13] offset:16
	v_and_b32_e32 v18, 3, v39
	v_lshlrev_b32_e32 v19, 3, v21
	s_clause 0x1
	global_load_dwordx2 v[88:89], v20, s[12:13] offset:16
	global_load_dword v93, v19, s[12:13] offset:16
	v_lshlrev_b32_e32 v19, 3, v18
	v_and_or_b32 v4, 0x1f8, v4, v18
	v_and_or_b32 v6, 0x3f8, v6, v17
	;; [unrolled: 1-line block ×4, first 2 shown]
	global_load_dword v94, v19, s[12:13] offset:16
	v_and_or_b32 v19, 0x78, v62, v17
	v_lshl_add_u32 v98, v4, 3, 0
	v_lshl_add_u32 v99, v5, 3, 0
	;; [unrolled: 1-line block ×5, first 2 shown]
	v_and_or_b32 v19, 0xf8, v3, v21
	ds_read2_b64 v[0:3], v69 offset0:110 offset1:173
	v_lshl_add_u32 v102, v8, 3, 0
	v_lshl_add_u32 v103, v9, 3, 0
	;; [unrolled: 1-line block ×7, first 2 shown]
	ds_read2_b64 v[4:7], v68 offset0:112 offset1:175
	ds_read2_b64 v[8:11], v33 offset0:108 offset1:171
	;; [unrolled: 1-line block ×5, first 2 shown]
	ds_read2_b64 v[24:27], v66 offset1:63
	ds_read2_b64 v[28:31], v66 offset0:126 offset1:189
	ds_read2_b64 v[46:49], v32 offset0:124 offset1:187
	;; [unrolled: 1-line block ×5, first 2 shown]
	v_and_b32_e32 v44, 7, v58
	v_and_b32_e32 v45, 7, v40
	s_waitcnt vmcnt(0) lgkmcnt(0)
	s_barrier
	buffer_gl0_inv
	v_lshlrev_b32_e32 v95, 4, v44
	v_lshlrev_b32_e32 v65, 4, v45
	v_mul_f32_e32 v108, v1, v42
	v_mul_f32_e32 v42, v0, v42
	v_fmac_f32_e32 v108, v0, v41
	v_fma_f32 v41, v1, v41, -v42
	v_mul_f32_e32 v42, v3, v55
	v_mul_f32_e32 v0, v2, v55
	;; [unrolled: 1-line block ×5, first 2 shown]
	v_fmac_f32_e32 v42, v2, v54
	v_fma_f32 v54, v3, v54, -v0
	v_mul_f32_e32 v0, v6, v64
	v_mul_f32_e32 v64, v5, v83
	v_fmac_f32_e32 v55, v6, v63
	v_mul_f32_e32 v2, v10, v43
	v_mul_f32_e32 v43, v9, v83
	v_fma_f32 v63, v7, v63, -v0
	v_mul_f32_e32 v0, v8, v83
	v_mul_f32_e32 v3, v83, v13
	v_fma_f32 v110, v5, v82, -v1
	v_mul_f32_e32 v1, v83, v12
	v_fmac_f32_e32 v64, v4, v82
	v_mul_f32_e32 v4, v85, v15
	v_mul_f32_e32 v5, v85, v14
	;; [unrolled: 1-line block ×5, first 2 shown]
	v_fma_f32 v90, v9, v82, -v0
	v_mul_f32_e32 v0, v87, v20
	v_fmac_f32_e32 v43, v8, v82
	v_mul_f32_e32 v8, v23, v89
	v_mul_f32_e32 v9, v22, v89
	v_fmac_f32_e32 v109, v10, v84
	v_fma_f32 v84, v11, v84, -v2
	v_mul_f32_e32 v85, v19, v91
	v_mul_f32_e32 v2, v18, v91
	v_fmac_f32_e32 v3, v82, v12
	v_fma_f32 v1, v82, v13, -v1
	v_fmac_f32_e32 v4, v93, v14
	v_fma_f32 v5, v93, v15, -v5
	v_fma_f32 v82, v17, v86, -v6
	v_fmac_f32_e32 v7, v94, v20
	v_fma_f32 v6, v94, v21, -v0
	v_fmac_f32_e32 v8, v22, v92
	;; [unrolled: 2-line block ×3, first 2 shown]
	v_fmac_f32_e32 v85, v18, v88
	v_fma_f32 v86, v19, v88, -v2
	v_sub_f32_e32 v0, v24, v3
	v_sub_f32_e32 v1, v25, v1
	;; [unrolled: 1-line block ×24, first 2 shown]
	v_fma_f32 v24, v24, 2.0, -v0
	v_fma_f32 v25, v25, 2.0, -v1
	;; [unrolled: 1-line block ×24, first 2 shown]
	ds_write2_b64 v96, v[24:25], v[0:1] offset1:4
	ds_write2_b64 v97, v[26:27], v[2:3] offset1:4
	;; [unrolled: 1-line block ×12, first 2 shown]
	s_waitcnt lgkmcnt(0)
	s_barrier
	buffer_gl0_inv
	s_clause 0x1
	global_load_dwordx4 v[4:7], v95, s[12:13] offset:48
	global_load_dwordx4 v[0:3], v65, s[12:13] offset:48
	v_and_b32_e32 v46, 7, v39
	v_and_b32_e32 v47, 7, v73
	;; [unrolled: 1-line block ×5, first 2 shown]
	v_lshlrev_b32_e32 v8, 4, v46
	v_lshlrev_b32_e32 v9, 4, v47
	s_clause 0x1
	global_load_dwordx4 v[12:15], v8, s[12:13] offset:48
	global_load_dwordx4 v[8:11], v9, s[12:13] offset:48
	v_lshlrev_b32_e32 v16, 4, v48
	v_lshlrev_b32_e32 v20, 4, v49
	;; [unrolled: 1-line block ×3, first 2 shown]
	v_and_b32_e32 v51, 7, v38
	v_lshrrev_b32_e32 v42, 3, v58
	s_clause 0x2
	global_load_dwordx4 v[16:19], v16, s[12:13] offset:48
	global_load_dwordx4 v[20:23], v20, s[12:13] offset:48
	;; [unrolled: 1-line block ×3, first 2 shown]
	v_lshlrev_b32_e32 v24, 4, v51
	v_and_b32_e32 v43, 0xff, v58
	v_mul_u32_u24_e32 v52, 24, v42
	v_lshrrev_b32_e32 v53, 3, v40
	v_lshrrev_b32_e32 v54, 3, v39
	global_load_dwordx4 v[24:27], v24, s[12:13] offset:48
	v_lshrrev_b32_e32 v55, 3, v73
	v_lshrrev_b32_e32 v64, 3, v37
	;; [unrolled: 1-line block ×3, first 2 shown]
	v_mul_lo_u16 v75, 0xab, v43
	v_and_b32_e32 v76, 0xff, v40
	v_and_b32_e32 v42, 0xff, v39
	v_lshrrev_b32_e32 v63, 3, v36
	v_lshrrev_b32_e32 v65, 3, v35
	v_or_b32_e32 v52, v52, v44
	v_mul_u32_u24_e32 v53, 24, v53
	v_mul_u32_u24_e32 v54, 24, v54
	;; [unrolled: 1-line block ×5, first 2 shown]
	v_lshrrev_b16 v44, 12, v75
	v_mul_lo_u16 v75, 0xab, v76
	v_mul_lo_u16 v76, 0xab, v42
	v_mul_u32_u24_e32 v63, 24, v63
	v_mul_u32_u24_e32 v65, 24, v65
	v_or_b32_e32 v45, v53, v45
	v_or_b32_e32 v53, v54, v46
	;; [unrolled: 1-line block ×5, first 2 shown]
	v_lshrrev_b16 v46, 12, v75
	v_lshrrev_b16 v47, 12, v76
	ds_read2_b64 v[74:77], v68 offset0:112 offset1:175
	v_lshl_add_u32 v99, v52, 3, 0
	v_or_b32_e32 v48, v63, v48
	v_or_b32_e32 v63, v65, v50
	ds_read2_b64 v[49:52], v34 offset0:120 offset1:183
	ds_read2_b64 v[78:81], v71 offset0:118 offset1:181
	;; [unrolled: 1-line block ×6, first 2 shown]
	v_lshl_add_u32 v102, v54, 3, 0
	v_mul_lo_u16 v65, v44, 24
	v_lshl_add_u32 v101, v53, 3, 0
	v_lshl_add_u32 v104, v64, 3, 0
	;; [unrolled: 1-line block ×4, first 2 shown]
	v_sub_nc_u16 v48, v58, v65
	v_lshl_add_u32 v65, v63, 3, 0
	v_and_b32_e32 v43, 0xff, v73
	v_lshl_add_u32 v55, v55, 3, 0
	v_mov_b32_e32 v41, 4
	v_mul_lo_u16 v45, v46, 24
	v_mul_lo_u16 v42, v42, 57
	;; [unrolled: 1-line block ×4, first 2 shown]
	v_lshlrev_b32_sdwa v105, v41, v48 dst_sel:DWORD dst_unused:UNUSED_PAD src0_sel:DWORD src1_sel:BYTE_0
	v_sub_nc_u16 v45, v40, v45
	v_lshrrev_b16 v42, 12, v42
	v_lshrrev_b16 v43, 12, v43
	v_lshlrev_b32_sdwa v106, v41, v45 dst_sel:DWORD dst_unused:UNUSED_PAD src0_sel:DWORD src1_sel:BYTE_0
	s_waitcnt vmcnt(7) lgkmcnt(6)
	v_mul_f32_e32 v54, v7, v75
	v_mul_f32_e32 v7, v7, v74
	s_waitcnt lgkmcnt(5)
	v_mul_f32_e32 v53, v5, v50
	v_mul_f32_e32 v5, v5, v49
	s_waitcnt vmcnt(6)
	v_mul_f32_e32 v64, v77, v3
	v_fmac_f32_e32 v54, v6, v74
	v_fma_f32 v74, v6, v75, -v7
	v_mul_f32_e32 v7, v76, v3
	v_mul_f32_e32 v63, v1, v52
	;; [unrolled: 1-line block ×3, first 2 shown]
	v_fmac_f32_e32 v53, v4, v49
	v_fma_f32 v107, v4, v50, -v5
	ds_read2_b64 v[3:6], v72 offset0:106 offset1:169
	v_fmac_f32_e32 v64, v76, v2
	v_fma_f32 v2, v77, v2, -v7
	s_waitcnt vmcnt(5) lgkmcnt(5)
	v_mul_f32_e32 v7, v78, v13
	v_fmac_f32_e32 v63, v0, v51
	v_fma_f32 v0, v0, v52, -v1
	v_mul_f32_e32 v1, v79, v13
	s_waitcnt lgkmcnt(4)
	v_mul_f32_e32 v75, v83, v15
	v_mul_f32_e32 v13, v82, v15
	ds_read2_b64 v[49:52], v66 offset1:63
	s_waitcnt vmcnt(4)
	v_mul_f32_e32 v76, v81, v9
	v_mul_f32_e32 v9, v80, v9
	v_fma_f32 v77, v79, v12, -v7
	v_mul_f32_e32 v79, v85, v11
	v_mul_f32_e32 v7, v84, v11
	v_fmac_f32_e32 v1, v78, v12
	v_fmac_f32_e32 v75, v82, v14
	v_fma_f32 v78, v83, v14, -v13
	ds_read2_b64 v[12:15], v66 offset0:126 offset1:189
	v_fmac_f32_e32 v76, v80, v8
	v_fma_f32 v80, v81, v8, -v9
	s_waitcnt vmcnt(3) lgkmcnt(5)
	v_mul_f32_e32 v11, v87, v17
	v_mul_f32_e32 v17, v86, v17
	s_waitcnt lgkmcnt(4)
	v_mul_f32_e32 v81, v91, v19
	v_fmac_f32_e32 v79, v84, v10
	v_fma_f32 v82, v85, v10, -v7
	v_mul_f32_e32 v19, v90, v19
	ds_read2_b64 v[7:10], v32 offset0:124 offset1:187
	s_waitcnt vmcnt(2)
	v_mul_f32_e32 v85, v89, v21
	v_mul_f32_e32 v21, v88, v21
	v_fmac_f32_e32 v11, v86, v16
	v_fma_f32 v83, v87, v16, -v17
	v_fmac_f32_e32 v81, v90, v18
	v_fma_f32 v84, v91, v18, -v19
	ds_read2_b64 v[16:19], v70 offset0:122 offset1:185
	v_fmac_f32_e32 v85, v88, v20
	v_fma_f32 v20, v89, v20, -v21
	v_mul_f32_e32 v21, v92, v23
	v_mul_f32_e32 v86, v93, v23
	s_waitcnt vmcnt(1) lgkmcnt(5)
	v_mul_f32_e32 v87, v95, v29
	v_mul_f32_e32 v23, v94, v29
	s_waitcnt lgkmcnt(4)
	v_mul_f32_e32 v88, v4, v31
	v_fma_f32 v29, v93, v22, -v21
	v_mul_f32_e32 v21, v3, v31
	v_fmac_f32_e32 v86, v92, v22
	s_waitcnt vmcnt(0)
	v_mul_f32_e32 v31, v97, v25
	v_mul_f32_e32 v22, v96, v25
	;; [unrolled: 1-line block ×4, first 2 shown]
	v_fmac_f32_e32 v87, v94, v28
	v_fma_f32 v27, v95, v28, -v23
	v_fma_f32 v28, v4, v30, -v21
	s_waitcnt lgkmcnt(3)
	v_add_f32_e32 v4, v49, v53
	v_fmac_f32_e32 v88, v3, v30
	v_fma_f32 v30, v97, v24, -v22
	v_fmac_f32_e32 v89, v5, v26
	v_fma_f32 v6, v6, v26, -v25
	v_add_f32_e32 v3, v50, v107
	v_sub_f32_e32 v90, v107, v74
	v_add_f32_e32 v25, v107, v74
	v_add_f32_e32 v5, v52, v0
	s_waitcnt lgkmcnt(2)
	v_add_f32_e32 v22, v13, v77
	v_add_f32_e32 v23, v12, v1
	v_add_f32_e32 v107, v14, v76
	v_fmac_f32_e32 v31, v96, v24
	v_add_f32_e32 v24, v53, v54
	v_sub_f32_e32 v53, v53, v54
	v_sub_f32_e32 v91, v0, v2
	v_add_f32_e32 v26, v0, v2
	v_add_f32_e32 v21, v51, v63
	v_sub_f32_e32 v93, v77, v78
	v_add_f32_e32 v77, v77, v78
	v_add_f32_e32 v94, v1, v75
	;; [unrolled: 1-line block ×3, first 2 shown]
	s_waitcnt lgkmcnt(1)
	v_add_f32_e32 v54, v8, v83
	v_add_f32_e32 v92, v63, v64
	v_sub_f32_e32 v95, v1, v75
	v_add_f32_e32 v108, v76, v79
	v_sub_f32_e32 v76, v76, v79
	v_add_f32_e32 v109, v7, v11
	v_add_f32_e32 v1, v3, v74
	;; [unrolled: 1-line block ×3, first 2 shown]
	v_sub_f32_e32 v113, v20, v29
	v_add_f32_e32 v5, v22, v78
	v_add_f32_e32 v4, v23, v75
	v_add_f32_e32 v75, v10, v20
	v_add_f32_e32 v78, v20, v29
	v_add_f32_e32 v20, v107, v79
	v_add_f32_e32 v79, v87, v88
	v_sub_f32_e32 v63, v63, v64
	v_add_f32_e32 v96, v15, v80
	v_sub_f32_e32 v97, v80, v82
	v_add_f32_e32 v80, v80, v82
	v_add_f32_e32 v110, v11, v81
	v_sub_f32_e32 v111, v83, v84
	v_add_f32_e32 v74, v83, v84
	v_sub_f32_e32 v83, v11, v81
	v_add_f32_e32 v2, v21, v64
	v_add_f32_e32 v64, v85, v86
	s_waitcnt lgkmcnt(0)
	v_add_f32_e32 v114, v16, v87
	v_add_f32_e32 v23, v54, v84
	;; [unrolled: 1-line block ×3, first 2 shown]
	v_fma_f32 v24, -0.5, v24, v49
	v_fma_f32 v25, -0.5, v25, v50
	v_add_f32_e32 v49, v19, v30
	v_add_f32_e32 v50, v18, v31
	v_sub_f32_e32 v84, v87, v88
	v_fma_f32 v11, -0.5, v94, v12
	v_fma_f32 v12, -0.5, v77, v13
	v_add_f32_e32 v77, v30, v6
	v_add_f32_e32 v87, v31, v89
	v_fma_f32 v51, -0.5, v92, v51
	v_fmac_f32_e32 v52, -0.5, v26
	v_add_f32_e32 v22, v109, v81
	v_sub_f32_e32 v81, v27, v28
	v_fma_f32 v16, -0.5, v79, v16
	v_add_f32_e32 v112, v9, v85
	v_sub_f32_e32 v85, v85, v86
	v_add_f32_e32 v21, v96, v82
	v_add_f32_e32 v82, v17, v27
	v_sub_f32_e32 v13, v30, v6
	v_fma_f32 v14, -0.5, v108, v14
	v_sub_f32_e32 v92, v31, v89
	v_fmac_f32_e32 v15, -0.5, v80
	v_add_f32_e32 v31, v49, v6
	v_add_f32_e32 v30, v50, v89
	v_fma_f32 v6, -0.5, v110, v7
	v_fma_f32 v7, -0.5, v74, v8
	;; [unrolled: 1-line block ×3, first 2 shown]
	v_fmac_f32_e32 v10, -0.5, v78
	v_fma_f32 v17, -0.5, v54, v17
	v_fma_f32 v18, -0.5, v87, v18
	v_fmac_f32_e32 v19, -0.5, v77
	v_fmamk_f32 v49, v90, 0xbf5db3d7, v24
	v_fmamk_f32 v50, v53, 0x3f5db3d7, v25
	v_fmac_f32_e32 v24, 0x3f5db3d7, v90
	v_fmac_f32_e32 v25, 0xbf5db3d7, v53
	v_fmamk_f32 v53, v91, 0xbf5db3d7, v51
	v_fmamk_f32 v54, v63, 0x3f5db3d7, v52
	v_fmac_f32_e32 v51, 0x3f5db3d7, v91
	v_fmac_f32_e32 v52, 0xbf5db3d7, v63
	v_fmamk_f32 v63, v93, 0xbf5db3d7, v11
	v_fmamk_f32 v64, v95, 0x3f5db3d7, v12
	;; [unrolled: 1-line block ×3, first 2 shown]
	v_fmac_f32_e32 v16, 0x3f5db3d7, v81
	s_barrier
	buffer_gl0_inv
	v_add_f32_e32 v26, v112, v86
	v_add_f32_e32 v27, v75, v29
	;; [unrolled: 1-line block ×4, first 2 shown]
	v_fmac_f32_e32 v11, 0x3f5db3d7, v93
	v_fmac_f32_e32 v12, 0xbf5db3d7, v95
	v_fmamk_f32 v74, v97, 0xbf5db3d7, v14
	v_fmamk_f32 v75, v76, 0x3f5db3d7, v15
	v_fmac_f32_e32 v14, 0x3f5db3d7, v97
	v_fmac_f32_e32 v15, 0xbf5db3d7, v76
	v_fmamk_f32 v76, v111, 0xbf5db3d7, v6
	v_fmac_f32_e32 v6, 0x3f5db3d7, v111
	v_fmamk_f32 v77, v83, 0x3f5db3d7, v7
	;; [unrolled: 2-line block ×7, first 2 shown]
	v_fmac_f32_e32 v19, 0xbf5db3d7, v92
	ds_write2_b64 v99, v[0:1], v[49:50] offset1:8
	ds_write_b64 v99, v[24:25] offset:128
	ds_write2_b64 v100, v[2:3], v[53:54] offset1:8
	ds_write_b64 v100, v[51:52] offset:128
	;; [unrolled: 2-line block ×8, first 2 shown]
	v_mul_lo_u16 v8, v47, 24
	v_mov_b32_e32 v16, 0xaaab
	v_lshrrev_b16 v49, 12, v98
	s_waitcnt lgkmcnt(0)
	s_barrier
	v_sub_nc_u16 v50, v39, v8
	v_mul_u32_u24_sdwa v8, v36, v16 dst_sel:DWORD dst_unused:UNUSED_PAD src0_sel:WORD_0 src1_sel:DWORD
	v_mul_u32_u24_sdwa v10, v37, v16 dst_sel:DWORD dst_unused:UNUSED_PAD src0_sel:WORD_0 src1_sel:DWORD
	buffer_gl0_inv
	s_clause 0x1
	global_load_dwordx4 v[4:7], v105, s[12:13] offset:176
	global_load_dwordx4 v[0:3], v106, s[12:13] offset:176
	v_lshrrev_b32_e32 v53, 20, v8
	v_lshrrev_b32_e32 v54, 20, v10
	v_mul_lo_u16 v9, v49, 24
	v_add_nc_u32_e32 v76, -9, v58
	v_mov_b32_e32 v63, 0
	v_mul_lo_u16 v17, v53, 24
	v_mul_lo_u16 v18, v54, 24
	v_sub_nc_u16 v51, v73, v9
	v_lshlrev_b32_sdwa v9, v41, v50 dst_sel:DWORD dst_unused:UNUSED_PAD src0_sel:DWORD src1_sel:BYTE_0
	v_cndmask_b32_e64 v76, v76, v40, s0
	v_sub_nc_u16 v52, v36, v17
	v_mul_u32_u24_sdwa v17, v35, v16 dst_sel:DWORD dst_unused:UNUSED_PAD src0_sel:WORD_0 src1_sel:DWORD
	v_sub_nc_u16 v55, v37, v18
	v_lshlrev_b32_sdwa v8, v41, v51 dst_sel:DWORD dst_unused:UNUSED_PAD src0_sel:DWORD src1_sel:BYTE_0
	global_load_dwordx4 v[12:15], v9, s[12:13] offset:176
	v_mul_u32_u24_sdwa v16, v38, v16 dst_sel:DWORD dst_unused:UNUSED_PAD src0_sel:WORD_0 src1_sel:DWORD
	v_lshrrev_b32_e32 v74, 20, v17
	v_lshlrev_b32_sdwa v17, v41, v55 dst_sel:DWORD dst_unused:UNUSED_PAD src0_sel:DWORD src1_sel:WORD_0
	v_lshlrev_b32_sdwa v18, v41, v52 dst_sel:DWORD dst_unused:UNUSED_PAD src0_sel:DWORD src1_sel:WORD_0
	v_lshlrev_b64 v[77:78], 3, v[62:63]
	v_lshrrev_b32_e32 v75, 20, v16
	v_mul_lo_u16 v16, v74, 24
	s_clause 0x2
	global_load_dwordx4 v[24:27], v17, s[12:13] offset:176
	global_load_dwordx4 v[8:11], v8, s[12:13] offset:176
	;; [unrolled: 1-line block ×3, first 2 shown]
	v_lshlrev_b32_e32 v62, 1, v76
	v_sub_nc_u16 v64, v35, v16
	v_mul_lo_u16 v16, v75, 24
	v_add_co_u32 v97, s0, s12, v77
	v_add_co_ci_u32_e64 v98, s0, s13, v78, s0
	v_lshlrev_b32_sdwa v17, v41, v64 dst_sel:DWORD dst_unused:UNUSED_PAD src0_sel:DWORD src1_sel:WORD_0
	v_sub_nc_u16 v65, v38, v16
	v_lshlrev_b64 v[77:78], 3, v[62:63]
	v_mov_b32_e32 v40, 3
	v_mul_u32_u24_e32 v81, 0x240, v74
	global_load_dwordx4 v[20:23], v17, s[12:13] offset:176
	v_lshlrev_b32_sdwa v16, v41, v65 dst_sel:DWORD dst_unused:UNUSED_PAD src0_sel:DWORD src1_sel:WORD_0
	v_mov_b32_e32 v79, 0x240
	v_add_co_u32 v74, s0, s12, v77
	v_mul_u32_u24_e32 v80, 0x240, v53
	global_load_dwordx4 v[16:19], v16, s[12:13] offset:176
	v_mul_u32_u24_e32 v62, 0x240, v54
	v_mul_u32_u24_e32 v82, 0x240, v75
	v_add_co_ci_u32_e64 v75, s0, s13, v78, s0
	v_lshlrev_b32_sdwa v78, v40, v52 dst_sel:DWORD dst_unused:UNUSED_PAD src0_sel:DWORD src1_sel:WORD_0
	v_lshlrev_b32_sdwa v85, v40, v55 dst_sel:DWORD dst_unused:UNUSED_PAD src0_sel:DWORD src1_sel:WORD_0
	ds_read2_b64 v[52:55], v68 offset0:112 offset1:175
	v_mul_u32_u24_sdwa v44, v44, v79 dst_sel:DWORD dst_unused:UNUSED_PAD src0_sel:WORD_0 src1_sel:DWORD
	v_lshlrev_b32_sdwa v77, v40, v48 dst_sel:DWORD dst_unused:UNUSED_PAD src0_sel:DWORD src1_sel:BYTE_0
	v_mul_u32_u24_sdwa v83, v46, v79 dst_sel:DWORD dst_unused:UNUSED_PAD src0_sel:WORD_0 src1_sel:DWORD
	v_mul_u32_u24_sdwa v84, v47, v79 dst_sel:DWORD dst_unused:UNUSED_PAD src0_sel:WORD_0 src1_sel:DWORD
	;; [unrolled: 1-line block ×3, first 2 shown]
	ds_read2_b64 v[46:49], v34 offset0:120 offset1:183
	v_lshlrev_b32_sdwa v64, v40, v64 dst_sel:DWORD dst_unused:UNUSED_PAD src0_sel:DWORD src1_sel:WORD_0
	v_lshlrev_b32_sdwa v65, v40, v65 dst_sel:DWORD dst_unused:UNUSED_PAD src0_sel:DWORD src1_sel:WORD_0
	v_add3_u32 v103, 0, v44, v77
	v_lshlrev_b32_sdwa v44, v40, v45 dst_sel:DWORD dst_unused:UNUSED_PAD src0_sel:DWORD src1_sel:BYTE_0
	v_lshlrev_b32_sdwa v45, v40, v50 dst_sel:DWORD dst_unused:UNUSED_PAD src0_sel:DWORD src1_sel:BYTE_0
	;; [unrolled: 1-line block ×3, first 2 shown]
	v_add3_u32 v104, 0, v80, v78
	v_add3_u32 v62, 0, v62, v85
	;; [unrolled: 1-line block ×7, first 2 shown]
	ds_read2_b64 v[77:80], v71 offset0:118 offset1:181
	ds_read2_b64 v[81:84], v69 offset0:110 offset1:173
	;; [unrolled: 1-line block ×5, first 2 shown]
	v_mov_b32_e32 v99, 0xe38f
	v_mul_lo_u16 v102, 0x48, v42
	v_cmp_lt_u32_e64 s0, 8, v58
	v_mul_u32_u24_sdwa v100, v36, v99 dst_sel:DWORD dst_unused:UNUSED_PAD src0_sel:WORD_0 src1_sel:DWORD
	v_mul_u32_u24_sdwa v101, v37, v99 dst_sel:DWORD dst_unused:UNUSED_PAD src0_sel:WORD_0 src1_sel:DWORD
	s_waitcnt vmcnt(7) lgkmcnt(6)
	v_mul_f32_e32 v51, v7, v53
	v_mul_f32_e32 v7, v7, v52
	s_waitcnt lgkmcnt(5)
	v_mul_f32_e32 v50, v5, v47
	v_mul_f32_e32 v5, v5, v46
	s_waitcnt vmcnt(6)
	v_mul_f32_e32 v64, v1, v49
	v_fmac_f32_e32 v51, v6, v52
	v_fma_f32 v52, v6, v53, -v7
	v_mul_f32_e32 v53, v55, v3
	v_mul_f32_e32 v7, v54, v3
	v_mul_f32_e32 v1, v1, v48
	v_fmac_f32_e32 v50, v4, v46
	v_fma_f32 v65, v4, v47, -v5
	ds_read2_b64 v[3:6], v72 offset0:106 offset1:169
	v_fmac_f32_e32 v53, v54, v2
	v_fma_f32 v2, v55, v2, -v7
	v_fmac_f32_e32 v64, v0, v48
	s_waitcnt vmcnt(5) lgkmcnt(5)
	v_mul_f32_e32 v7, v77, v13
	v_fma_f32 v0, v0, v49, -v1
	ds_read2_b64 v[44:47], v66 offset1:63
	v_mul_f32_e32 v1, v78, v13
	s_waitcnt lgkmcnt(5)
	v_mul_f32_e32 v48, v82, v15
	v_mul_f32_e32 v13, v81, v15
	v_fma_f32 v49, v78, v12, -v7
	v_fmac_f32_e32 v1, v77, v12
	s_waitcnt vmcnt(3)
	v_mul_f32_e32 v15, v80, v9
	v_mul_f32_e32 v9, v79, v9
	;; [unrolled: 1-line block ×4, first 2 shown]
	v_fmac_f32_e32 v48, v81, v14
	v_fma_f32 v54, v82, v14, -v13
	v_fmac_f32_e32 v15, v79, v8
	v_fma_f32 v77, v80, v8, -v9
	ds_read2_b64 v[11:14], v66 offset0:126 offset1:189
	v_fmac_f32_e32 v55, v83, v10
	v_fma_f32 v78, v84, v10, -v7
	ds_read2_b64 v[7:10], v32 offset0:124 offset1:187
	s_waitcnt vmcnt(2) lgkmcnt(6)
	v_mul_f32_e32 v79, v86, v29
	v_mul_f32_e32 v29, v85, v29
	s_waitcnt lgkmcnt(5)
	v_mul_f32_e32 v80, v90, v31
	v_mul_f32_e32 v31, v89, v31
	;; [unrolled: 1-line block ×4, first 2 shown]
	v_fmac_f32_e32 v79, v85, v28
	v_fma_f32 v82, v86, v28, -v29
	v_fmac_f32_e32 v80, v89, v30
	v_fma_f32 v83, v90, v30, -v31
	ds_read2_b64 v[28:31], v70 offset0:122 offset1:185
	v_fmac_f32_e32 v81, v87, v24
	v_fma_f32 v24, v88, v24, -v25
	v_mul_f32_e32 v25, v92, v27
	v_mul_f32_e32 v27, v91, v27
	s_waitcnt vmcnt(1) lgkmcnt(5)
	v_mul_f32_e32 v84, v94, v21
	v_mul_f32_e32 v21, v93, v21
	s_waitcnt vmcnt(0)
	v_mul_f32_e32 v85, v96, v17
	v_fmac_f32_e32 v25, v91, v26
	v_fma_f32 v26, v92, v26, -v27
	s_waitcnt lgkmcnt(4)
	v_mul_f32_e32 v27, v4, v23
	v_mul_f32_e32 v23, v3, v23
	;; [unrolled: 1-line block ×5, first 2 shown]
	v_fmac_f32_e32 v27, v3, v22
	v_fma_f32 v23, v4, v22, -v23
	s_waitcnt lgkmcnt(3)
	v_add_f32_e32 v3, v45, v65
	v_add_f32_e32 v4, v44, v50
	v_fmac_f32_e32 v84, v93, v20
	v_fma_f32 v20, v94, v20, -v21
	v_fmac_f32_e32 v85, v95, v16
	v_fma_f32 v21, v96, v16, -v17
	;; [unrolled: 2-line block ×3, first 2 shown]
	v_sub_f32_e32 v88, v65, v52
	v_add_f32_e32 v6, v65, v52
	v_add_f32_e32 v19, v50, v51
	v_sub_f32_e32 v50, v50, v51
	v_add_f32_e32 v5, v47, v0
	v_sub_f32_e32 v65, v0, v2
	v_add_f32_e32 v22, v0, v2
	v_add_f32_e32 v16, v46, v64
	s_waitcnt lgkmcnt(2)
	v_add_f32_e32 v17, v12, v49
	v_sub_f32_e32 v90, v49, v54
	v_add_f32_e32 v49, v49, v54
	v_add_f32_e32 v18, v11, v1
	;; [unrolled: 1-line block ×3, first 2 shown]
	v_sub_f32_e32 v92, v1, v48
	v_add_f32_e32 v93, v14, v77
	v_add_f32_e32 v95, v13, v15
	s_waitcnt lgkmcnt(1)
	v_add_f32_e32 v111, v8, v82
	v_sub_f32_e32 v112, v82, v83
	v_add_f32_e32 v82, v82, v83
	v_add_f32_e32 v1, v3, v52
	v_add_f32_e32 v0, v4, v51
	v_add_f32_e32 v51, v7, v79
	v_add_f32_e32 v52, v79, v80
	v_add_f32_e32 v89, v64, v53
	v_sub_f32_e32 v64, v64, v53
	v_sub_f32_e32 v94, v77, v78
	v_add_f32_e32 v77, v77, v78
	v_add_f32_e32 v96, v15, v55
	v_sub_f32_e32 v110, v15, v55
	v_add_f32_e32 v3, v5, v2
	v_add_f32_e32 v2, v16, v53
	;; [unrolled: 1-line block ×3, first 2 shown]
	v_sub_f32_e32 v113, v24, v26
	v_add_f32_e32 v114, v24, v26
	v_add_f32_e32 v5, v17, v54
	;; [unrolled: 1-line block ×7, first 2 shown]
	s_waitcnt lgkmcnt(0)
	v_add_f32_e32 v54, v29, v20
	v_sub_f32_e32 v78, v20, v23
	v_add_f32_e32 v55, v20, v23
	v_add_f32_e32 v17, v51, v80
	;; [unrolled: 1-line block ×3, first 2 shown]
	v_fma_f32 v19, -0.5, v19, v44
	v_fma_f32 v20, -0.5, v6, v45
	v_add_f32_e32 v44, v84, v27
	v_add_f32_e32 v45, v31, v21
	v_fma_f32 v12, -0.5, v49, v12
	v_add_f32_e32 v49, v21, v87
	v_fma_f32 v6, -0.5, v52, v7
	v_fma_f32 v7, -0.5, v82, v8
	v_add_f32_e32 v8, v85, v86
	v_fma_f32 v46, -0.5, v89, v46
	v_fmac_f32_e32 v47, -0.5, v22
	v_fma_f32 v11, -0.5, v91, v11
	v_sub_f32_e32 v79, v79, v80
	v_sub_f32_e32 v81, v81, v25
	v_add_f32_e32 v18, v111, v83
	v_sub_f32_e32 v80, v84, v27
	v_sub_f32_e32 v83, v21, v87
	v_fma_f32 v13, -0.5, v96, v13
	v_add_f32_e32 v84, v30, v85
	v_fmac_f32_e32 v14, -0.5, v77
	v_sub_f32_e32 v82, v85, v86
	v_add_f32_e32 v22, v53, v26
	v_add_f32_e32 v21, v24, v25
	;; [unrolled: 1-line block ×5, first 2 shown]
	v_fma_f32 v9, -0.5, v48, v9
	v_fmac_f32_e32 v10, -0.5, v114
	v_fma_f32 v27, -0.5, v44, v28
	v_fma_f32 v28, -0.5, v55, v29
	;; [unrolled: 1-line block ×3, first 2 shown]
	v_fmac_f32_e32 v31, -0.5, v49
	v_fmamk_f32 v44, v88, 0xbf5db3d7, v19
	v_fmamk_f32 v45, v50, 0x3f5db3d7, v20
	v_fmac_f32_e32 v19, 0x3f5db3d7, v88
	v_fmac_f32_e32 v20, 0xbf5db3d7, v50
	v_fmamk_f32 v48, v65, 0xbf5db3d7, v46
	v_fmamk_f32 v49, v64, 0x3f5db3d7, v47
	v_fmac_f32_e32 v46, 0x3f5db3d7, v65
	v_fmac_f32_e32 v47, 0xbf5db3d7, v64
	v_fmamk_f32 v50, v90, 0xbf5db3d7, v11
	v_fmamk_f32 v51, v92, 0x3f5db3d7, v12
	s_barrier
	buffer_gl0_inv
	v_add_f32_e32 v25, v84, v86
	v_fmac_f32_e32 v11, 0x3f5db3d7, v90
	v_fmac_f32_e32 v12, 0xbf5db3d7, v92
	v_fmamk_f32 v52, v94, 0xbf5db3d7, v13
	v_fmamk_f32 v53, v110, 0x3f5db3d7, v14
	v_fmac_f32_e32 v13, 0x3f5db3d7, v94
	v_fmac_f32_e32 v14, 0xbf5db3d7, v110
	v_fmamk_f32 v54, v112, 0xbf5db3d7, v6
	v_fmamk_f32 v55, v79, 0x3f5db3d7, v7
	v_fmac_f32_e32 v6, 0x3f5db3d7, v112
	v_fmac_f32_e32 v7, 0xbf5db3d7, v79
	v_fmamk_f32 v64, v113, 0xbf5db3d7, v9
	v_fmac_f32_e32 v9, 0x3f5db3d7, v113
	v_fmamk_f32 v65, v81, 0x3f5db3d7, v10
	;; [unrolled: 2-line block ×6, first 2 shown]
	v_fmac_f32_e32 v31, 0xbf5db3d7, v82
	ds_write2_b64 v103, v[0:1], v[44:45] offset1:24
	ds_write_b64 v103, v[19:20] offset:384
	ds_write2_b64 v107, v[2:3], v[48:49] offset1:24
	ds_write_b64 v107, v[46:47] offset:384
	;; [unrolled: 2-line block ×8, first 2 shown]
	v_mul_u32_u24_sdwa v17, v38, v99 dst_sel:DWORD dst_unused:UNUSED_PAD src0_sel:WORD_0 src1_sel:DWORD
	v_mul_u32_u24_sdwa v3, v35, v99 dst_sel:DWORD dst_unused:UNUSED_PAD src0_sel:WORD_0 src1_sel:DWORD
	v_lshrrev_b32_e32 v0, 22, v100
	v_sub_nc_u16 v1, v39, v102
	v_mul_lo_u16 v2, 0x48, v43
	v_lshrrev_b32_e32 v20, 22, v17
	v_lshrrev_b32_e32 v39, 22, v101
	;; [unrolled: 1-line block ×3, first 2 shown]
	v_mul_lo_u16 v16, 0x48, v0
	v_sub_nc_u16 v2, v73, v2
	v_mul_lo_u16 v25, 0x48, v20
	v_mul_lo_u16 v18, 0x48, v39
	;; [unrolled: 1-line block ×3, first 2 shown]
	s_waitcnt lgkmcnt(0)
	s_barrier
	v_sub_nc_u16 v28, v38, v25
	buffer_gl0_inv
	s_clause 0x1
	global_load_dwordx4 v[8:11], v[97:98], off offset:560
	global_load_dwordx4 v[4:7], v[74:75], off offset:560
	v_lshlrev_b32_sdwa v12, v41, v1 dst_sel:DWORD dst_unused:UNUSED_PAD src0_sel:DWORD src1_sel:BYTE_0
	v_lshlrev_b32_sdwa v19, v41, v2 dst_sel:DWORD dst_unused:UNUSED_PAD src0_sel:DWORD src1_sel:BYTE_0
	v_sub_nc_u16 v44, v36, v16
	v_sub_nc_u16 v45, v37, v18
	;; [unrolled: 1-line block ×3, first 2 shown]
	v_and_b32_e32 v47, 0xffff, v28
	s_clause 0x1
	global_load_dwordx4 v[12:15], v12, s[12:13] offset:560
	global_load_dwordx4 v[16:19], v19, s[12:13] offset:560
	v_lshlrev_b32_sdwa v21, v41, v44 dst_sel:DWORD dst_unused:UNUSED_PAD src0_sel:DWORD src1_sel:WORD_0
	v_lshlrev_b32_sdwa v26, v41, v45 dst_sel:DWORD dst_unused:UNUSED_PAD src0_sel:DWORD src1_sel:WORD_0
	v_lshlrev_b32_sdwa v29, v41, v46 dst_sel:DWORD dst_unused:UNUSED_PAD src0_sel:DWORD src1_sel:WORD_0
	v_lshlrev_b32_e32 v35, 4, v47
	v_cndmask_b32_e64 v41, 0, 0x6c0, s0
	s_clause 0x3
	global_load_dwordx4 v[20:23], v21, s[12:13] offset:560
	global_load_dwordx4 v[24:27], v26, s[12:13] offset:560
	;; [unrolled: 1-line block ×4, first 2 shown]
	v_lshlrev_b32_e32 v48, 3, v76
	v_mov_b32_e32 v49, 0x6c0
	v_mul_u32_u24_e32 v0, 0x6c0, v0
	v_mul_u32_u24_e32 v39, 0x6c0, v39
	v_lshlrev_b32_sdwa v50, v40, v46 dst_sel:DWORD dst_unused:UNUSED_PAD src0_sel:DWORD src1_sel:WORD_0
	v_add3_u32 v55, 0, v41, v48
	v_mul_u32_u24_sdwa v48, v42, v49 dst_sel:DWORD dst_unused:UNUSED_PAD src0_sel:WORD_0 src1_sel:DWORD
	v_lshlrev_b32_sdwa v41, v40, v44 dst_sel:DWORD dst_unused:UNUSED_PAD src0_sel:DWORD src1_sel:WORD_0
	v_lshlrev_b32_sdwa v42, v40, v45 dst_sel:DWORD dst_unused:UNUSED_PAD src0_sel:DWORD src1_sel:WORD_0
	v_mul_u32_u24_sdwa v49, v43, v49 dst_sel:DWORD dst_unused:UNUSED_PAD src0_sel:WORD_0 src1_sel:DWORD
	v_lshlrev_b32_sdwa v1, v40, v1 dst_sel:DWORD dst_unused:UNUSED_PAD src0_sel:DWORD src1_sel:BYTE_0
	v_lshlrev_b32_sdwa v2, v40, v2 dst_sel:DWORD dst_unused:UNUSED_PAD src0_sel:DWORD src1_sel:BYTE_0
	v_add3_u32 v62, 0, v0, v41
	v_add3_u32 v64, 0, v39, v42
	ds_read2_b64 v[39:42], v34 offset0:120 offset1:183
	ds_read2_b64 v[43:46], v68 offset0:112 offset1:175
	v_mul_u32_u24_e32 v3, 0x6c0, v3
	v_lshl_add_u32 v65, v47, 3, 0
	v_add3_u32 v103, 0, v48, v1
	v_add3_u32 v104, 0, v49, v2
	v_cmp_gt_u32_e64 s0, 27, v58
	v_add3_u32 v102, 0, v3, v50
	ds_read2_b64 v[47:50], v71 offset0:118 offset1:181
	ds_read2_b64 v[51:54], v69 offset0:110 offset1:173
	;; [unrolled: 1-line block ×6, first 2 shown]
	ds_read2_b64 v[90:93], v66 offset1:63
	ds_read2_b64 v[94:97], v32 offset0:124 offset1:187
	ds_read2_b64 v[98:101], v66 offset0:126 offset1:189
	;; [unrolled: 1-line block ×3, first 2 shown]
	v_add_nc_u32_e32 v105, 0x2800, v65
	s_waitcnt vmcnt(0) lgkmcnt(0)
	s_barrier
	buffer_gl0_inv
	v_mul_f32_e32 v32, v9, v40
	v_mul_f32_e32 v9, v9, v39
	;; [unrolled: 1-line block ×8, first 2 shown]
	v_fmac_f32_e32 v32, v8, v39
	v_fma_f32 v8, v8, v40, -v9
	v_fmac_f32_e32 v33, v10, v43
	v_fma_f32 v9, v10, v44, -v11
	v_mul_f32_e32 v10, v48, v13
	v_mul_f32_e32 v11, v47, v13
	;; [unrolled: 1-line block ×3, first 2 shown]
	v_fmac_f32_e32 v34, v4, v41
	v_fma_f32 v4, v4, v42, -v5
	v_mul_f32_e32 v5, v51, v15
	v_mul_f32_e32 v13, v50, v17
	;; [unrolled: 1-line block ×4, first 2 shown]
	v_fmac_f32_e32 v106, v45, v6
	v_fma_f32 v6, v46, v6, -v7
	v_mul_f32_e32 v7, v53, v19
	v_mul_f32_e32 v17, v75, v21
	;; [unrolled: 1-line block ×8, first 2 shown]
	v_fmac_f32_e32 v10, v47, v12
	v_fma_f32 v11, v48, v12, -v11
	v_fmac_f32_e32 v39, v51, v14
	v_fma_f32 v5, v52, v14, -v5
	v_mul_f32_e32 v12, v80, v27
	v_mul_f32_e32 v14, v83, v29
	;; [unrolled: 1-line block ×4, first 2 shown]
	v_fmac_f32_e32 v13, v49, v16
	v_fma_f32 v15, v50, v16, -v15
	v_mul_f32_e32 v16, v86, v31
	v_mul_f32_e32 v31, v85, v36
	;; [unrolled: 1-line block ×4, first 2 shown]
	v_fmac_f32_e32 v40, v53, v18
	v_fma_f32 v7, v54, v18, -v7
	v_mul_f32_e32 v18, v88, v38
	v_fmac_f32_e32 v17, v74, v20
	v_fma_f32 v19, v75, v20, -v19
	v_fmac_f32_e32 v41, v78, v22
	v_fma_f32 v20, v79, v22, -v21
	;; [unrolled: 2-line block ×6, first 2 shown]
	v_fma_f32 v16, v85, v35, -v36
	v_fmac_f32_e32 v31, v84, v35
	v_fmac_f32_e32 v43, v88, v37
	v_fma_f32 v26, v89, v37, -v18
	v_add_f32_e32 v25, v8, v9
	v_add_f32_e32 v27, v32, v33
	v_add_f32_e32 v28, v93, v4
	v_sub_f32_e32 v35, v4, v6
	v_add_f32_e32 v4, v4, v6
	v_add_f32_e32 v37, v34, v106
	;; [unrolled: 1-line block ×15, first 2 shown]
	v_sub_f32_e32 v30, v8, v9
	v_add_f32_e32 v8, v90, v32
	v_sub_f32_e32 v32, v32, v33
	v_add_f32_e32 v45, v98, v10
	v_sub_f32_e32 v47, v11, v5
	v_sub_f32_e32 v48, v10, v39
	v_add_f32_e32 v86, v1, v12
	v_add_f32_e32 v89, v0, v14
	;; [unrolled: 1-line block ×4, first 2 shown]
	v_fma_f32 v10, -0.5, v27, v90
	v_fma_f32 v11, -0.5, v25, v91
	v_add_f32_e32 v36, v92, v34
	v_sub_f32_e32 v34, v34, v106
	v_fma_f32 v92, -0.5, v37, v92
	v_fmac_f32_e32 v93, -0.5, v4
	v_add_f32_e32 v49, v100, v13
	v_add_f32_e32 v50, v101, v15
	v_sub_f32_e32 v52, v15, v7
	v_add_f32_e32 v54, v95, v19
	v_add_f32_e32 v74, v94, v17
	v_sub_f32_e32 v75, v13, v40
	v_sub_f32_e32 v76, v19, v20
	;; [unrolled: 1-line block ×3, first 2 shown]
	v_add_f32_e32 v80, v97, v21
	v_sub_f32_e32 v81, v21, v22
	v_add_f32_e32 v83, v96, v23
	v_sub_f32_e32 v85, v23, v42
	v_sub_f32_e32 v87, v12, v24
	;; [unrolled: 1-line block ×4, first 2 shown]
	v_fma_f32 v14, -0.5, v38, v98
	v_fma_f32 v15, -0.5, v44, v99
	v_add_f32_e32 v17, v46, v5
	v_add_f32_e32 v5, v110, v26
	v_fma_f32 v100, -0.5, v51, v100
	v_fmac_f32_e32 v101, -0.5, v53
	v_fma_f32 v26, -0.5, v78, v94
	v_fma_f32 v27, -0.5, v77, v95
	;; [unrolled: 1-line block ×3, first 2 shown]
	v_fmac_f32_e32 v97, -0.5, v82
	v_fma_f32 v0, -0.5, v107, v0
	v_fma_f32 v1, -0.5, v88, v1
	v_add_f32_e32 v112, v2, v31
	v_sub_f32_e32 v114, v31, v43
	v_add_f32_e32 v9, v18, v9
	v_add_f32_e32 v8, v8, v33
	;; [unrolled: 1-line block ×5, first 2 shown]
	v_fma_f32 v2, -0.5, v113, v2
	v_fmac_f32_e32 v3, -0.5, v111
	v_fmamk_f32 v28, v30, 0xbf5db3d7, v10
	v_fmamk_f32 v29, v32, 0x3f5db3d7, v11
	v_fmac_f32_e32 v10, 0x3f5db3d7, v30
	v_fmac_f32_e32 v11, 0xbf5db3d7, v32
	v_add_f32_e32 v12, v36, v106
	v_fmamk_f32 v30, v35, 0xbf5db3d7, v92
	v_fmamk_f32 v31, v34, 0x3f5db3d7, v93
	v_fmac_f32_e32 v92, 0x3f5db3d7, v35
	v_fmac_f32_e32 v93, 0xbf5db3d7, v34
	v_add_f32_e32 v16, v45, v39
	v_add_f32_e32 v19, v50, v7
	;; [unrolled: 1-line block ×7, first 2 shown]
	v_fmamk_f32 v32, v47, 0xbf5db3d7, v14
	v_fmamk_f32 v33, v48, 0x3f5db3d7, v15
	;; [unrolled: 1-line block ×5, first 2 shown]
	v_fmac_f32_e32 v26, 0x3f5db3d7, v76
	v_fmamk_f32 v37, v79, 0x3f5db3d7, v27
	v_fmac_f32_e32 v27, 0xbf5db3d7, v79
	v_fmamk_f32 v38, v81, 0xbf5db3d7, v96
	v_fmamk_f32 v39, v85, 0x3f5db3d7, v97
	;; [unrolled: 1-line block ×4, first 2 shown]
	v_add_f32_e32 v4, v112, v43
	v_fmac_f32_e32 v14, 0x3f5db3d7, v47
	v_fmac_f32_e32 v15, 0xbf5db3d7, v48
	;; [unrolled: 1-line block ×8, first 2 shown]
	v_fmamk_f32 v6, v109, 0xbf5db3d7, v2
	v_fmac_f32_e32 v2, 0x3f5db3d7, v109
	v_fmamk_f32 v7, v114, 0x3f5db3d7, v3
	v_fmac_f32_e32 v3, 0xbf5db3d7, v114
	ds_write2_b64 v66, v[8:9], v[28:29] offset1:72
	ds_write_b64 v66, v[10:11] offset:1152
	ds_write2_b64 v55, v[12:13], v[30:31] offset1:72
	ds_write_b64 v55, v[92:93] offset:1152
	;; [unrolled: 2-line block ×7, first 2 shown]
	ds_write2_b64 v105, v[4:5], v[6:7] offset0:16 offset1:88
	ds_write_b64 v65, v[2:3] offset:11520
	s_waitcnt lgkmcnt(0)
	s_barrier
	buffer_gl0_inv
	ds_read2_b64 v[20:23], v66 offset1:63
	ds_read2_b64 v[16:19], v66 offset0:126 offset1:216
	ds_read2_b64 v[52:55], v70 offset0:176 offset1:239
	;; [unrolled: 1-line block ×8, first 2 shown]
	ds_read_b64 v[64:65], v66 offset:11376
	ds_read2_b64 v[32:35], v69 offset0:119 offset1:182
                                        ; implicit-def: $vgpr1
                                        ; implicit-def: $vgpr13
                                        ; implicit-def: $vgpr11
	s_and_saveexec_b32 s1, s0
	s_cbranch_execz .LBB0_21
; %bb.20:
	v_add_nc_u32_e32 v0, 0x1300, v66
	v_add_nc_u32_e32 v2, 0x500, v66
	ds_read2_b64 v[8:11], v0 offset0:13 offset1:229
	ds_read2_b64 v[12:15], v69 offset0:29 offset1:245
	ds_read_b64 v[0:1], v66 offset:11880
	ds_read2_b64 v[4:7], v2 offset0:29 offset1:245
	s_waitcnt lgkmcnt(3)
	v_mov_b32_e32 v3, v9
	v_mov_b32_e32 v2, v8
.LBB0_21:
	s_or_b32 exec_lo, exec_lo, s1
	v_mul_u32_u24_e32 v8, 6, v58
	v_lshlrev_b32_e32 v8, 3, v8
	s_clause 0x2
	global_load_dwordx4 v[74:77], v8, s[12:13] offset:1712
	global_load_dwordx4 v[78:81], v8, s[12:13] offset:1728
	;; [unrolled: 1-line block ×3, first 2 shown]
	v_add_co_u32 v62, s1, s12, v8
	v_add_co_ci_u32_e64 v98, null, s13, 0, s1
	v_add_co_u32 v8, s1, 0x1000, v62
	v_add_co_ci_u32_e64 v9, s1, 0, v98, s1
	v_add_co_u32 v94, s1, 0x1280, v62
	v_add_co_ci_u32_e64 v95, s1, 0, v98, s1
	s_clause 0x1
	global_load_dwordx4 v[86:89], v[8:9], off offset:640
	global_load_dwordx4 v[90:93], v[94:95], off offset:16
	v_add_co_u32 v8, s1, 0x1800, v62
	v_add_co_ci_u32_e64 v9, s1, 0, v98, s1
	v_add_co_u32 v106, s1, 0x1e50, v62
	v_add_co_ci_u32_e64 v107, s1, 0, v98, s1
	s_clause 0x3
	global_load_dwordx4 v[94:97], v[94:95], off offset:32
	global_load_dwordx4 v[98:101], v[8:9], off offset:1616
	;; [unrolled: 1-line block ×4, first 2 shown]
	s_waitcnt vmcnt(0) lgkmcnt(0)
	s_barrier
	buffer_gl0_inv
	v_mul_f32_e32 v8, v75, v19
	v_mul_f32_e32 v9, v75, v18
	;; [unrolled: 1-line block ×12, first 2 shown]
	v_fmac_f32_e32 v8, v74, v18
	v_fma_f32 v9, v74, v19, -v9
	v_fmac_f32_e32 v62, v76, v52
	v_fma_f32 v18, v76, v53, -v75
	;; [unrolled: 2-line block ×6, first 2 shown]
	v_mul_f32_e32 v31, v89, v55
	v_mul_f32_e32 v44, v89, v54
	;; [unrolled: 1-line block ×17, first 2 shown]
	v_fmac_f32_e32 v31, v88, v54
	v_fma_f32 v44, v88, v55, -v44
	v_mul_f32_e32 v54, v35, v107
	v_mul_f32_e32 v55, v34, v107
	v_add_f32_e32 v91, v8, v112
	v_sub_f32_e32 v8, v8, v112
	v_add_f32_e32 v93, v9, v27
	v_sub_f32_e32 v9, v9, v27
	;; [unrolled: 2-line block ×6, first 2 shown]
	v_mul_f32_e32 v82, v29, v101
	v_mul_f32_e32 v83, v28, v101
	;; [unrolled: 1-line block ×5, first 2 shown]
	v_fmac_f32_e32 v45, v86, v40
	v_fma_f32 v40, v86, v41, -v48
	v_fmac_f32_e32 v53, v50, v92
	v_fma_f32 v41, v51, v92, -v74
	;; [unrolled: 2-line block ×6, first 2 shown]
	v_fmac_f32_e32 v84, v38, v102
	v_fmac_f32_e32 v87, v24, v104
	v_fma_f32 v24, v25, v104, -v89
	v_fmac_f32_e32 v54, v34, v106
	v_fma_f32 v25, v35, v106, -v55
	v_add_f32_e32 v34, v27, v91
	v_add_f32_e32 v35, v95, v93
	v_sub_f32_e32 v38, v27, v91
	v_sub_f32_e32 v42, v91, v26
	;; [unrolled: 1-line block ×5, first 2 shown]
	v_add_f32_e32 v47, v77, v62
	v_add_f32_e32 v48, v19, v18
	v_sub_f32_e32 v50, v77, v62
	v_sub_f32_e32 v51, v19, v18
	;; [unrolled: 1-line block ×4, first 2 shown]
	v_fmac_f32_e32 v82, v28, v100
	v_fma_f32 v28, v29, v100, -v83
	v_fmac_f32_e32 v88, v64, v108
	v_fma_f32 v30, v65, v108, -v30
	v_fma_f32 v29, v39, v102, -v85
	v_sub_f32_e32 v39, v95, v93
	v_sub_f32_e32 v52, v8, v77
	;; [unrolled: 1-line block ×3, first 2 shown]
	v_add_f32_e32 v26, v26, v34
	v_add_f32_e32 v34, v97, v35
	;; [unrolled: 1-line block ×4, first 2 shown]
	v_mul_f32_e32 v42, 0x3f4a47b2, v42
	v_mul_f32_e32 v43, 0x3f4a47b2, v43
	;; [unrolled: 1-line block ×8, first 2 shown]
	v_add_f32_e32 v74, v45, v78
	v_add_f32_e32 v76, v40, v37
	v_sub_f32_e32 v37, v40, v37
	v_add_f32_e32 v40, v31, v75
	v_add_f32_e32 v77, v44, v32
	v_sub_f32_e32 v31, v31, v75
	v_sub_f32_e32 v32, v44, v32
	v_add_f32_e32 v44, v49, v53
	v_add_f32_e32 v75, v36, v41
	v_sub_f32_e32 v49, v53, v49
	;; [unrolled: 4-line block ×3, first 2 shown]
	v_add_f32_e32 v33, v82, v54
	v_add_f32_e32 v79, v28, v25
	v_sub_f32_e32 v45, v45, v78
	v_sub_f32_e32 v78, v80, v88
	;; [unrolled: 1-line block ×3, first 2 shown]
	v_add_f32_e32 v28, v84, v87
	v_add_f32_e32 v80, v29, v24
	v_sub_f32_e32 v24, v24, v29
	v_add_f32_e32 v8, v20, v26
	v_add_f32_e32 v9, v21, v34
	v_fmamk_f32 v20, v27, 0x3d64c772, v42
	v_fmamk_f32 v21, v46, 0x3d64c772, v43
	v_fma_f32 v27, 0x3f3bfb3b, v38, -v48
	v_fma_f32 v29, 0x3f3bfb3b, v39, -v62
	;; [unrolled: 1-line block ×4, first 2 shown]
	v_fmamk_f32 v42, v52, 0xbeae86e6, v50
	v_fmamk_f32 v43, v19, 0xbeae86e6, v51
	v_fma_f32 v46, 0xbf5ff5aa, v55, -v50
	v_fma_f32 v48, 0xbf5ff5aa, v18, -v51
	;; [unrolled: 1-line block ×4, first 2 shown]
	v_add_f32_e32 v18, v40, v74
	v_add_f32_e32 v19, v77, v76
	v_sub_f32_e32 v54, v82, v54
	v_sub_f32_e32 v81, v87, v84
	;; [unrolled: 1-line block ×7, first 2 shown]
	v_add_f32_e32 v76, v36, v32
	v_sub_f32_e32 v82, v36, v32
	v_sub_f32_e32 v32, v32, v37
	v_add_f32_e32 v83, v33, v41
	v_add_f32_e32 v84, v79, v53
	v_sub_f32_e32 v65, v75, v77
	v_add_f32_e32 v74, v49, v31
	v_sub_f32_e32 v77, v49, v31
	v_sub_f32_e32 v31, v31, v45
	;; [unrolled: 1-line block ×8, first 2 shown]
	v_add_f32_e32 v88, v24, v25
	v_sub_f32_e32 v90, v24, v25
	v_sub_f32_e32 v25, v25, v30
	v_fmamk_f32 v26, v26, 0xbf955555, v8
	v_fmamk_f32 v34, v34, 0xbf955555, v9
	v_fmac_f32_e32 v42, 0xbee1c552, v35
	v_fmac_f32_e32 v46, 0xbee1c552, v35
	;; [unrolled: 1-line block ×3, first 2 shown]
	v_add_f32_e32 v35, v44, v18
	v_add_f32_e32 v44, v75, v19
	v_sub_f32_e32 v36, v37, v36
	v_add_f32_e32 v87, v81, v54
	v_sub_f32_e32 v89, v81, v54
	v_fmac_f32_e32 v43, 0xbee1c552, v47
	v_fmac_f32_e32 v48, 0xbee1c552, v47
	;; [unrolled: 1-line block ×3, first 2 shown]
	v_add_f32_e32 v37, v76, v37
	v_mul_f32_e32 v47, 0x3f4a47b2, v62
	v_mul_f32_e32 v62, 0x3f4a47b2, v64
	;; [unrolled: 1-line block ×5, first 2 shown]
	v_add_f32_e32 v83, v28, v83
	v_add_f32_e32 v80, v80, v84
	v_sub_f32_e32 v54, v54, v78
	v_sub_f32_e32 v49, v45, v49
	;; [unrolled: 1-line block ×3, first 2 shown]
	v_add_f32_e32 v45, v74, v45
	v_mul_f32_e32 v74, 0x3d64c772, v65
	v_mul_f32_e32 v75, 0x3f08b237, v77
	;; [unrolled: 1-line block ×3, first 2 shown]
	v_add_f32_e32 v84, v88, v30
	v_mul_f32_e32 v28, 0x3f4a47b2, v41
	v_mul_f32_e32 v30, 0x3f4a47b2, v53
	;; [unrolled: 1-line block ×6, first 2 shown]
	v_add_f32_e32 v92, v21, v34
	v_add_f32_e32 v27, v27, v26
	;; [unrolled: 1-line block ×6, first 2 shown]
	v_sub_f32_e32 v81, v78, v81
	v_add_f32_e32 v78, v87, v78
	v_mul_f32_e32 v87, 0x3f08b237, v89
	v_add_f32_e32 v38, v38, v26
	v_fmamk_f32 v39, v40, 0x3d64c772, v47
	v_fmamk_f32 v40, v65, 0x3d64c772, v62
	v_fma_f32 v64, 0x3f3bfb3b, v52, -v64
	v_fma_f32 v47, 0xbf3bfb3b, v52, -v47
	v_fma_f32 v52, 0xbf3bfb3b, v55, -v62
	v_fmamk_f32 v62, v36, 0xbeae86e6, v76
	v_fma_f32 v32, 0xbf5ff5aa, v32, -v76
	v_fma_f32 v36, 0x3eae86e6, v36, -v82
	v_add_f32_e32 v16, v16, v83
	v_add_f32_e32 v17, v17, v80
	v_mul_f32_e32 v89, 0xbf5ff5aa, v54
	v_add_f32_e32 v91, v20, v26
	v_fma_f32 v65, 0x3f3bfb3b, v55, -v74
	v_fmamk_f32 v55, v49, 0xbeae86e6, v75
	v_fma_f32 v49, 0x3eae86e6, v49, -v77
	v_fma_f32 v41, 0x3f3bfb3b, v85, -v41
	;; [unrolled: 1-line block ×5, first 2 shown]
	v_fmamk_f32 v82, v24, 0xbeae86e6, v88
	v_fma_f32 v85, 0xbf5ff5aa, v25, -v88
	v_fma_f32 v86, 0x3eae86e6, v24, -v90
	v_sub_f32_e32 v23, v34, v50
	v_sub_f32_e32 v24, v27, v48
	v_add_f32_e32 v25, v46, v29
	v_add_f32_e32 v26, v48, v27
	v_sub_f32_e32 v27, v29, v46
	v_add_f32_e32 v29, v50, v34
	v_fmamk_f32 v34, v35, 0xbf955555, v18
	v_fmamk_f32 v35, v44, 0xbf955555, v19
	v_fma_f32 v74, 0xbf5ff5aa, v31, -v75
	v_fmamk_f32 v33, v33, 0x3d64c772, v28
	v_fmamk_f32 v75, v79, 0x3d64c772, v30
	;; [unrolled: 1-line block ×3, first 2 shown]
	v_add_f32_e32 v22, v51, v38
	v_sub_f32_e32 v28, v38, v51
	v_fmac_f32_e32 v62, 0xbee1c552, v37
	v_fmac_f32_e32 v32, 0xbee1c552, v37
	;; [unrolled: 1-line block ×3, first 2 shown]
	v_fmamk_f32 v37, v83, 0xbf955555, v16
	v_fmamk_f32 v38, v80, 0xbf955555, v17
	v_fma_f32 v81, 0x3eae86e6, v81, -v89
	v_fma_f32 v54, 0xbf5ff5aa, v54, -v87
	v_add_f32_e32 v20, v43, v91
	v_sub_f32_e32 v21, v92, v42
	v_sub_f32_e32 v30, v91, v43
	v_add_f32_e32 v31, v42, v92
	v_fmac_f32_e32 v49, 0xbee1c552, v45
	v_add_f32_e32 v39, v39, v34
	v_add_f32_e32 v40, v40, v35
	;; [unrolled: 1-line block ×6, first 2 shown]
	v_fmac_f32_e32 v74, 0xbee1c552, v45
	v_fmac_f32_e32 v55, 0xbee1c552, v45
	;; [unrolled: 1-line block ×4, first 2 shown]
	v_add_f32_e32 v46, v33, v37
	v_add_f32_e32 v47, v75, v38
	v_fmac_f32_e32 v81, 0xbee1c552, v78
	v_fmac_f32_e32 v86, 0xbee1c552, v84
	v_add_f32_e32 v48, v76, v37
	v_add_f32_e32 v50, v77, v38
	v_fmac_f32_e32 v54, 0xbee1c552, v78
	v_fmac_f32_e32 v85, 0xbee1c552, v84
	v_add_f32_e32 v44, v41, v37
	v_add_f32_e32 v45, v53, v38
	ds_write2_b64 v66, v[16:17], v[20:21] offset0:126 offset1:216
	v_add_f32_e32 v16, v36, v34
	v_sub_f32_e32 v17, v35, v49
	v_add_f32_e32 v20, v32, v42
	v_sub_f32_e32 v21, v43, v74
	ds_write2_b64 v66, v[8:9], v[18:19] offset1:63
	v_sub_f32_e32 v18, v42, v32
	v_sub_f32_e32 v32, v34, v36
	v_add_f32_e32 v33, v49, v35
	v_sub_f32_e32 v34, v39, v62
	v_add_f32_e32 v35, v55, v40
	v_add_f32_e32 v8, v62, v39
	v_sub_f32_e32 v9, v40, v55
	v_add_f32_e32 v36, v82, v46
	v_sub_f32_e32 v37, v47, v79
	;; [unrolled: 2-line block ×4, first 2 shown]
	v_add_f32_e32 v41, v54, v45
	v_add_f32_e32 v42, v85, v44
	v_sub_f32_e32 v43, v45, v54
	v_sub_f32_e32 v44, v48, v86
	v_add_f32_e32 v45, v81, v50
	v_sub_f32_e32 v46, v46, v82
	v_add_f32_e32 v47, v79, v47
	ds_write2_b64 v70, v[22:23], v[16:17] offset0:176 offset1:239
	ds_write2_b64 v67, v[26:27], v[20:21] offset0:96 offset1:159
	;; [unrolled: 1-line block ×8, first 2 shown]
	ds_write_b64 v66, v[46:47] offset:11376
	s_and_saveexec_b32 s1, s0
	s_cbranch_execz .LBB0_23
; %bb.22:
	v_subrev_nc_u32_e32 v8, 27, v58
	v_add_nc_u32_e32 v28, 0x500, v66
	v_add_nc_u32_e32 v29, 0x1300, v66
	;; [unrolled: 1-line block ×3, first 2 shown]
	v_cndmask_b32_e64 v8, v8, v73, s0
	v_mul_i32_i24_e32 v62, 6, v8
	v_lshlrev_b64 v[8:9], 3, v[62:63]
	v_add_co_u32 v8, s0, s12, v8
	v_add_co_ci_u32_e64 v9, s0, s13, v9, s0
	s_clause 0x2
	global_load_dwordx4 v[16:19], v[8:9], off offset:1712
	global_load_dwordx4 v[20:23], v[8:9], off offset:1744
	;; [unrolled: 1-line block ×3, first 2 shown]
	s_waitcnt vmcnt(2)
	v_mul_f32_e32 v8, v7, v17
	s_waitcnt vmcnt(1)
	v_mul_f32_e32 v9, v1, v23
	v_mul_f32_e32 v33, v3, v19
	;; [unrolled: 1-line block ×7, first 2 shown]
	s_waitcnt vmcnt(0)
	v_mul_f32_e32 v31, v13, v27
	v_mul_f32_e32 v32, v11, v25
	;; [unrolled: 1-line block ×4, first 2 shown]
	v_fmac_f32_e32 v8, v6, v16
	v_fmac_f32_e32 v9, v0, v22
	;; [unrolled: 1-line block ×4, first 2 shown]
	v_fma_f32 v0, v1, v22, -v23
	v_fma_f32 v1, v7, v16, -v17
	;; [unrolled: 1-line block ×4, first 2 shown]
	v_fmac_f32_e32 v31, v12, v26
	v_fmac_f32_e32 v32, v10, v24
	v_fma_f32 v2, v11, v24, -v25
	v_fma_f32 v6, v13, v26, -v27
	v_sub_f32_e32 v10, v8, v9
	v_add_f32_e32 v13, v1, v0
	v_add_f32_e32 v15, v3, v7
	;; [unrolled: 1-line block ×4, first 2 shown]
	v_sub_f32_e32 v11, v31, v32
	v_sub_f32_e32 v12, v33, v34
	v_add_f32_e32 v14, v2, v6
	v_add_f32_e32 v9, v32, v31
	v_sub_f32_e32 v0, v1, v0
	v_sub_f32_e32 v1, v6, v2
	;; [unrolled: 1-line block ×3, first 2 shown]
	v_add_f32_e32 v18, v15, v13
	v_add_f32_e32 v21, v16, v8
	v_sub_f32_e32 v3, v10, v11
	v_sub_f32_e32 v6, v11, v12
	v_add_f32_e32 v7, v11, v12
	v_sub_f32_e32 v11, v13, v14
	v_sub_f32_e32 v17, v14, v15
	;; [unrolled: 1-line block ×6, first 2 shown]
	v_add_f32_e32 v1, v1, v2
	v_add_f32_e32 v14, v14, v18
	v_add_f32_e32 v9, v9, v21
	v_sub_f32_e32 v12, v12, v10
	v_sub_f32_e32 v2, v2, v0
	v_sub_f32_e32 v13, v15, v13
	v_mul_f32_e32 v6, 0x3f08b237, v6
	v_add_f32_e32 v7, v7, v10
	v_mul_f32_e32 v10, 0x3f4a47b2, v11
	v_mul_f32_e32 v15, 0x3f4a47b2, v19
	;; [unrolled: 1-line block ×3, first 2 shown]
	v_add_f32_e32 v19, v1, v0
	v_add_f32_e32 v1, v5, v14
	;; [unrolled: 1-line block ×3, first 2 shown]
	v_sub_f32_e32 v8, v16, v8
	v_mul_f32_e32 v11, 0x3d64c772, v17
	v_mul_f32_e32 v16, 0x3d64c772, v20
	v_mul_f32_e32 v21, 0xbf5ff5aa, v12
	v_mul_f32_e32 v23, 0xbf5ff5aa, v2
	v_fmamk_f32 v24, v3, 0xbeae86e6, v6
	v_fmamk_f32 v17, v17, 0x3d64c772, v10
	;; [unrolled: 1-line block ×4, first 2 shown]
	v_fma_f32 v6, 0xbf5ff5aa, v12, -v6
	v_fmamk_f32 v12, v14, 0xbf955555, v1
	v_fmamk_f32 v9, v9, 0xbf955555, v0
	v_fma_f32 v21, 0x3eae86e6, v3, -v21
	v_fma_f32 v3, 0xbf3bfb3b, v13, -v10
	;; [unrolled: 1-line block ×7, first 2 shown]
	v_fmac_f32_e32 v24, 0xbee1c552, v7
	v_fmac_f32_e32 v20, 0xbee1c552, v19
	v_add_f32_e32 v13, v17, v12
	v_add_f32_e32 v14, v5, v9
	v_fmac_f32_e32 v21, 0xbee1c552, v7
	v_fmac_f32_e32 v10, 0xbee1c552, v19
	;; [unrolled: 1-line block ×4, first 2 shown]
	v_add_f32_e32 v15, v3, v12
	v_add_f32_e32 v16, v4, v9
	;; [unrolled: 1-line block ×5, first 2 shown]
	v_sub_f32_e32 v13, v13, v24
	v_add_f32_e32 v12, v20, v14
	v_sub_f32_e32 v4, v16, v10
	v_sub_f32_e32 v7, v11, v6
	v_add_f32_e32 v9, v6, v11
	v_sub_f32_e32 v8, v17, v2
	v_sub_f32_e32 v11, v15, v21
	v_add_f32_e32 v10, v10, v16
	v_add_f32_e32 v5, v21, v15
	;; [unrolled: 1-line block ×3, first 2 shown]
	v_sub_f32_e32 v2, v14, v20
	ds_write2_b64 v28, v[0:1], v[12:13] offset0:29 offset1:245
	ds_write2_b64 v29, v[10:11], v[8:9] offset0:13 offset1:229
	;; [unrolled: 1-line block ×3, first 2 shown]
	ds_write_b64 v66, v[2:3] offset:11880
.LBB0_23:
	s_or_b32 exec_lo, exec_lo, s1
	s_waitcnt lgkmcnt(0)
	s_barrier
	buffer_gl0_inv
	s_and_saveexec_b32 s0, vcc_lo
	s_cbranch_execz .LBB0_25
; %bb.24:
	v_mul_lo_u32 v0, s3, v60
	v_mul_lo_u32 v1, s2, v61
	v_mad_u64_u32 v[4:5], null, s2, v60, 0
	v_lshl_add_u32 v20, v58, 3, 0
	v_mov_b32_e32 v59, 0
	v_lshlrev_b64 v[8:9], 3, v[56:57]
	v_add_nc_u32_e32 v10, 63, v58
	v_add_nc_u32_e32 v12, 0x7e, v58
	;; [unrolled: 1-line block ×3, first 2 shown]
	v_add3_u32 v5, v5, v1, v0
	ds_read2_b64 v[0:3], v20 offset1:63
	v_mov_b32_e32 v11, v59
	v_lshlrev_b64 v[16:17], 3, v[58:59]
	v_mov_b32_e32 v13, v59
	v_lshlrev_b64 v[14:15], 3, v[4:5]
	ds_read2_b64 v[4:7], v20 offset0:126 offset1:189
	v_lshlrev_b64 v[10:11], 3, v[10:11]
	v_mov_b32_e32 v19, v59
	v_add_co_u32 v14, vcc_lo, s10, v14
	v_add_co_ci_u32_e32 v15, vcc_lo, s11, v15, vcc_lo
	v_add_co_u32 v21, vcc_lo, v14, v8
	v_add_co_ci_u32_e32 v22, vcc_lo, v15, v9, vcc_lo
	v_lshlrev_b64 v[8:9], 3, v[12:13]
	v_add_co_u32 v12, vcc_lo, v21, v16
	v_add_co_ci_u32_e32 v13, vcc_lo, v22, v17, vcc_lo
	v_add_co_u32 v10, vcc_lo, v21, v10
	v_add_co_ci_u32_e32 v11, vcc_lo, v22, v11, vcc_lo
	v_add_co_u32 v8, vcc_lo, v21, v8
	v_add_nc_u32_e32 v14, 0xbd, v58
	v_mov_b32_e32 v15, v59
	v_add_co_ci_u32_e32 v9, vcc_lo, v22, v9, vcc_lo
	s_waitcnt lgkmcnt(1)
	global_store_dwordx2 v[12:13], v[0:1], off
	global_store_dwordx2 v[10:11], v[2:3], off
	s_waitcnt lgkmcnt(0)
	global_store_dwordx2 v[8:9], v[4:5], off
	v_lshlrev_b64 v[0:1], 3, v[14:15]
	v_add_nc_u32_e32 v2, 0x400, v20
	v_add_nc_u32_e32 v8, 0x13b, v58
	v_mov_b32_e32 v9, v59
	v_add_nc_u32_e32 v10, 0x800, v20
	v_add_nc_u32_e32 v4, 0xfc, v58
	v_mov_b32_e32 v5, v59
	v_add_co_u32 v12, vcc_lo, v21, v0
	v_add_co_ci_u32_e32 v13, vcc_lo, v22, v1, vcc_lo
	ds_read2_b64 v[0:3], v2 offset0:124 offset1:187
	v_lshlrev_b64 v[14:15], 3, v[8:9]
	ds_read2_b64 v[8:11], v10 offset0:122 offset1:185
	v_lshlrev_b64 v[4:5], 3, v[4:5]
	v_add_nc_u32_e32 v16, 0x17a, v58
	v_mov_b32_e32 v17, v59
	v_add_co_u32 v4, vcc_lo, v21, v4
	v_lshlrev_b64 v[16:17], 3, v[16:17]
	v_add_co_ci_u32_e32 v5, vcc_lo, v22, v5, vcc_lo
	v_add_co_u32 v14, vcc_lo, v21, v14
	v_add_co_ci_u32_e32 v15, vcc_lo, v22, v15, vcc_lo
	v_add_co_u32 v16, vcc_lo, v21, v16
	v_add_co_ci_u32_e32 v17, vcc_lo, v22, v17, vcc_lo
	global_store_dwordx2 v[12:13], v[6:7], off
	s_waitcnt lgkmcnt(1)
	global_store_dwordx2 v[4:5], v[0:1], off
	global_store_dwordx2 v[14:15], v[2:3], off
	s_waitcnt lgkmcnt(0)
	global_store_dwordx2 v[16:17], v[8:9], off
	v_lshlrev_b64 v[0:1], 3, v[18:19]
	v_add_nc_u32_e32 v2, 0xc00, v20
	v_add_nc_u32_e32 v4, 0x1f8, v58
	v_mov_b32_e32 v5, v59
	v_add_nc_u32_e32 v6, 0x237, v58
	v_mov_b32_e32 v7, v59
	v_add_nc_u32_e32 v17, 0x1000, v20
	v_add_co_u32 v8, vcc_lo, v21, v0
	v_add_co_ci_u32_e32 v9, vcc_lo, v22, v1, vcc_lo
	ds_read2_b64 v[0:3], v2 offset0:120 offset1:183
	v_lshlrev_b64 v[12:13], 3, v[4:5]
	v_lshlrev_b64 v[14:15], 3, v[6:7]
	ds_read2_b64 v[4:7], v17 offset0:118 offset1:181
	v_add_nc_u32_e32 v16, 0x276, v58
	v_mov_b32_e32 v17, v59
	v_add_nc_u32_e32 v18, 0x2b5, v58
	v_add_co_u32 v12, vcc_lo, v21, v12
	v_add_co_ci_u32_e32 v13, vcc_lo, v22, v13, vcc_lo
	v_lshlrev_b64 v[16:17], 3, v[16:17]
	v_add_co_u32 v14, vcc_lo, v21, v14
	v_add_co_ci_u32_e32 v15, vcc_lo, v22, v15, vcc_lo
	v_add_co_u32 v16, vcc_lo, v21, v16
	v_add_co_ci_u32_e32 v17, vcc_lo, v22, v17, vcc_lo
	global_store_dwordx2 v[8:9], v[10:11], off
	s_waitcnt lgkmcnt(1)
	global_store_dwordx2 v[12:13], v[0:1], off
	global_store_dwordx2 v[14:15], v[2:3], off
	s_waitcnt lgkmcnt(0)
	global_store_dwordx2 v[16:17], v[4:5], off
	v_lshlrev_b64 v[0:1], 3, v[18:19]
	v_add_nc_u32_e32 v2, 0x1400, v20
	v_add_nc_u32_e32 v8, 0x333, v58
	v_mov_b32_e32 v9, v59
	v_add_nc_u32_e32 v10, 0x1800, v20
	v_add_nc_u32_e32 v4, 0x2f4, v58
	v_mov_b32_e32 v5, v59
	v_add_co_u32 v12, vcc_lo, v21, v0
	v_add_co_ci_u32_e32 v13, vcc_lo, v22, v1, vcc_lo
	ds_read2_b64 v[0:3], v2 offset0:116 offset1:179
	v_lshlrev_b64 v[14:15], 3, v[8:9]
	ds_read2_b64 v[8:11], v10 offset0:114 offset1:177
	v_lshlrev_b64 v[4:5], 3, v[4:5]
	v_add_nc_u32_e32 v16, 0x372, v58
	v_mov_b32_e32 v17, v59
	v_add_nc_u32_e32 v18, 0x3b1, v58
	v_add_co_u32 v4, vcc_lo, v21, v4
	v_lshlrev_b64 v[16:17], 3, v[16:17]
	v_add_co_ci_u32_e32 v5, vcc_lo, v22, v5, vcc_lo
	v_add_co_u32 v14, vcc_lo, v21, v14
	v_add_co_ci_u32_e32 v15, vcc_lo, v22, v15, vcc_lo
	v_add_co_u32 v16, vcc_lo, v21, v16
	v_add_co_ci_u32_e32 v17, vcc_lo, v22, v17, vcc_lo
	global_store_dwordx2 v[12:13], v[6:7], off
	s_waitcnt lgkmcnt(1)
	global_store_dwordx2 v[4:5], v[0:1], off
	global_store_dwordx2 v[14:15], v[2:3], off
	s_waitcnt lgkmcnt(0)
	global_store_dwordx2 v[16:17], v[8:9], off
	v_lshlrev_b64 v[0:1], 3, v[18:19]
	v_add_nc_u32_e32 v2, 0x1c00, v20
	v_add_nc_u32_e32 v4, 0x3f0, v58
	v_mov_b32_e32 v5, v59
	v_add_nc_u32_e32 v6, 0x42f, v58
	v_mov_b32_e32 v7, v59
	v_add_nc_u32_e32 v17, 0x2000, v20
	v_add_co_u32 v8, vcc_lo, v21, v0
	v_add_co_ci_u32_e32 v9, vcc_lo, v22, v1, vcc_lo
	ds_read2_b64 v[0:3], v2 offset0:112 offset1:175
	v_lshlrev_b64 v[12:13], 3, v[4:5]
	v_lshlrev_b64 v[14:15], 3, v[6:7]
	ds_read2_b64 v[4:7], v17 offset0:110 offset1:173
	v_add_nc_u32_e32 v16, 0x46e, v58
	v_mov_b32_e32 v17, v59
	v_add_nc_u32_e32 v18, 0x4ad, v58
	v_add_co_u32 v12, vcc_lo, v21, v12
	v_add_co_ci_u32_e32 v13, vcc_lo, v22, v13, vcc_lo
	v_lshlrev_b64 v[16:17], 3, v[16:17]
	v_add_co_u32 v14, vcc_lo, v21, v14
	v_add_co_ci_u32_e32 v15, vcc_lo, v22, v15, vcc_lo
	v_add_co_u32 v16, vcc_lo, v21, v16
	v_add_co_ci_u32_e32 v17, vcc_lo, v22, v17, vcc_lo
	global_store_dwordx2 v[8:9], v[10:11], off
	s_waitcnt lgkmcnt(1)
	global_store_dwordx2 v[12:13], v[0:1], off
	global_store_dwordx2 v[14:15], v[2:3], off
	s_waitcnt lgkmcnt(0)
	global_store_dwordx2 v[16:17], v[4:5], off
	v_lshlrev_b64 v[0:1], 3, v[18:19]
	v_add_nc_u32_e32 v2, 0x2400, v20
	v_add_nc_u32_e32 v4, 0x4ec, v58
	v_mov_b32_e32 v5, v59
	v_add_nc_u32_e32 v8, 0x52b, v58
	v_mov_b32_e32 v9, v59
	v_add_nc_u32_e32 v10, 0x2800, v20
	v_add_co_u32 v12, vcc_lo, v21, v0
	v_add_co_ci_u32_e32 v13, vcc_lo, v22, v1, vcc_lo
	ds_read2_b64 v[0:3], v2 offset0:108 offset1:171
	v_lshlrev_b64 v[4:5], 3, v[4:5]
	v_lshlrev_b64 v[14:15], 3, v[8:9]
	v_add_nc_u32_e32 v16, 0x56a, v58
	v_mov_b32_e32 v17, v59
	ds_read2_b64 v[8:11], v10 offset0:106 offset1:169
	v_add_nc_u32_e32 v58, 0x5a9, v58
	v_add_co_u32 v4, vcc_lo, v21, v4
	v_lshlrev_b64 v[16:17], 3, v[16:17]
	v_add_co_ci_u32_e32 v5, vcc_lo, v22, v5, vcc_lo
	v_add_co_u32 v14, vcc_lo, v21, v14
	v_lshlrev_b64 v[18:19], 3, v[58:59]
	v_add_co_ci_u32_e32 v15, vcc_lo, v22, v15, vcc_lo
	v_add_co_u32 v16, vcc_lo, v21, v16
	v_add_co_ci_u32_e32 v17, vcc_lo, v22, v17, vcc_lo
	v_add_co_u32 v18, vcc_lo, v21, v18
	v_add_co_ci_u32_e32 v19, vcc_lo, v22, v19, vcc_lo
	global_store_dwordx2 v[12:13], v[6:7], off
	s_waitcnt lgkmcnt(1)
	global_store_dwordx2 v[4:5], v[0:1], off
	global_store_dwordx2 v[14:15], v[2:3], off
	s_waitcnt lgkmcnt(0)
	global_store_dwordx2 v[16:17], v[8:9], off
	global_store_dwordx2 v[18:19], v[10:11], off
.LBB0_25:
	s_endpgm
	.section	.rodata,"a",@progbits
	.p2align	6, 0x0
	.amdhsa_kernel fft_rtc_back_len1512_factors_2_2_2_3_3_3_7_wgs_63_tpt_63_halfLds_sp_op_CI_CI_unitstride_sbrr_C2R_dirReg
		.amdhsa_group_segment_fixed_size 0
		.amdhsa_private_segment_fixed_size 0
		.amdhsa_kernarg_size 104
		.amdhsa_user_sgpr_count 6
		.amdhsa_user_sgpr_private_segment_buffer 1
		.amdhsa_user_sgpr_dispatch_ptr 0
		.amdhsa_user_sgpr_queue_ptr 0
		.amdhsa_user_sgpr_kernarg_segment_ptr 1
		.amdhsa_user_sgpr_dispatch_id 0
		.amdhsa_user_sgpr_flat_scratch_init 0
		.amdhsa_user_sgpr_private_segment_size 0
		.amdhsa_wavefront_size32 1
		.amdhsa_uses_dynamic_stack 0
		.amdhsa_system_sgpr_private_segment_wavefront_offset 0
		.amdhsa_system_sgpr_workgroup_id_x 1
		.amdhsa_system_sgpr_workgroup_id_y 0
		.amdhsa_system_sgpr_workgroup_id_z 0
		.amdhsa_system_sgpr_workgroup_info 0
		.amdhsa_system_vgpr_workitem_id 0
		.amdhsa_next_free_vgpr 117
		.amdhsa_next_free_sgpr 27
		.amdhsa_reserve_vcc 1
		.amdhsa_reserve_flat_scratch 0
		.amdhsa_float_round_mode_32 0
		.amdhsa_float_round_mode_16_64 0
		.amdhsa_float_denorm_mode_32 3
		.amdhsa_float_denorm_mode_16_64 3
		.amdhsa_dx10_clamp 1
		.amdhsa_ieee_mode 1
		.amdhsa_fp16_overflow 0
		.amdhsa_workgroup_processor_mode 1
		.amdhsa_memory_ordered 1
		.amdhsa_forward_progress 0
		.amdhsa_shared_vgpr_count 0
		.amdhsa_exception_fp_ieee_invalid_op 0
		.amdhsa_exception_fp_denorm_src 0
		.amdhsa_exception_fp_ieee_div_zero 0
		.amdhsa_exception_fp_ieee_overflow 0
		.amdhsa_exception_fp_ieee_underflow 0
		.amdhsa_exception_fp_ieee_inexact 0
		.amdhsa_exception_int_div_zero 0
	.end_amdhsa_kernel
	.text
.Lfunc_end0:
	.size	fft_rtc_back_len1512_factors_2_2_2_3_3_3_7_wgs_63_tpt_63_halfLds_sp_op_CI_CI_unitstride_sbrr_C2R_dirReg, .Lfunc_end0-fft_rtc_back_len1512_factors_2_2_2_3_3_3_7_wgs_63_tpt_63_halfLds_sp_op_CI_CI_unitstride_sbrr_C2R_dirReg
                                        ; -- End function
	.section	.AMDGPU.csdata,"",@progbits
; Kernel info:
; codeLenInByte = 16224
; NumSgprs: 29
; NumVgprs: 117
; ScratchSize: 0
; MemoryBound: 0
; FloatMode: 240
; IeeeMode: 1
; LDSByteSize: 0 bytes/workgroup (compile time only)
; SGPRBlocks: 3
; VGPRBlocks: 14
; NumSGPRsForWavesPerEU: 29
; NumVGPRsForWavesPerEU: 117
; Occupancy: 8
; WaveLimiterHint : 1
; COMPUTE_PGM_RSRC2:SCRATCH_EN: 0
; COMPUTE_PGM_RSRC2:USER_SGPR: 6
; COMPUTE_PGM_RSRC2:TRAP_HANDLER: 0
; COMPUTE_PGM_RSRC2:TGID_X_EN: 1
; COMPUTE_PGM_RSRC2:TGID_Y_EN: 0
; COMPUTE_PGM_RSRC2:TGID_Z_EN: 0
; COMPUTE_PGM_RSRC2:TIDIG_COMP_CNT: 0
	.text
	.p2alignl 6, 3214868480
	.fill 48, 4, 3214868480
	.type	__hip_cuid_94e1736625c6ddbc,@object ; @__hip_cuid_94e1736625c6ddbc
	.section	.bss,"aw",@nobits
	.globl	__hip_cuid_94e1736625c6ddbc
__hip_cuid_94e1736625c6ddbc:
	.byte	0                               ; 0x0
	.size	__hip_cuid_94e1736625c6ddbc, 1

	.ident	"AMD clang version 19.0.0git (https://github.com/RadeonOpenCompute/llvm-project roc-6.4.0 25133 c7fe45cf4b819c5991fe208aaa96edf142730f1d)"
	.section	".note.GNU-stack","",@progbits
	.addrsig
	.addrsig_sym __hip_cuid_94e1736625c6ddbc
	.amdgpu_metadata
---
amdhsa.kernels:
  - .args:
      - .actual_access:  read_only
        .address_space:  global
        .offset:         0
        .size:           8
        .value_kind:     global_buffer
      - .offset:         8
        .size:           8
        .value_kind:     by_value
      - .actual_access:  read_only
        .address_space:  global
        .offset:         16
        .size:           8
        .value_kind:     global_buffer
      - .actual_access:  read_only
        .address_space:  global
        .offset:         24
        .size:           8
        .value_kind:     global_buffer
      - .actual_access:  read_only
        .address_space:  global
        .offset:         32
        .size:           8
        .value_kind:     global_buffer
      - .offset:         40
        .size:           8
        .value_kind:     by_value
      - .actual_access:  read_only
        .address_space:  global
        .offset:         48
        .size:           8
        .value_kind:     global_buffer
      - .actual_access:  read_only
        .address_space:  global
        .offset:         56
        .size:           8
        .value_kind:     global_buffer
      - .offset:         64
        .size:           4
        .value_kind:     by_value
      - .actual_access:  read_only
        .address_space:  global
        .offset:         72
        .size:           8
        .value_kind:     global_buffer
      - .actual_access:  read_only
        .address_space:  global
        .offset:         80
        .size:           8
        .value_kind:     global_buffer
      - .actual_access:  read_only
        .address_space:  global
        .offset:         88
        .size:           8
        .value_kind:     global_buffer
      - .actual_access:  write_only
        .address_space:  global
        .offset:         96
        .size:           8
        .value_kind:     global_buffer
    .group_segment_fixed_size: 0
    .kernarg_segment_align: 8
    .kernarg_segment_size: 104
    .language:       OpenCL C
    .language_version:
      - 2
      - 0
    .max_flat_workgroup_size: 63
    .name:           fft_rtc_back_len1512_factors_2_2_2_3_3_3_7_wgs_63_tpt_63_halfLds_sp_op_CI_CI_unitstride_sbrr_C2R_dirReg
    .private_segment_fixed_size: 0
    .sgpr_count:     29
    .sgpr_spill_count: 0
    .symbol:         fft_rtc_back_len1512_factors_2_2_2_3_3_3_7_wgs_63_tpt_63_halfLds_sp_op_CI_CI_unitstride_sbrr_C2R_dirReg.kd
    .uniform_work_group_size: 1
    .uses_dynamic_stack: false
    .vgpr_count:     117
    .vgpr_spill_count: 0
    .wavefront_size: 32
    .workgroup_processor_mode: 1
amdhsa.target:   amdgcn-amd-amdhsa--gfx1030
amdhsa.version:
  - 1
  - 2
...

	.end_amdgpu_metadata
